;; amdgpu-corpus repo=ROCm/rocFFT kind=compiled arch=gfx906 opt=O3
	.text
	.amdgcn_target "amdgcn-amd-amdhsa--gfx906"
	.amdhsa_code_object_version 6
	.protected	bluestein_single_fwd_len272_dim1_dp_op_CI_CI ; -- Begin function bluestein_single_fwd_len272_dim1_dp_op_CI_CI
	.globl	bluestein_single_fwd_len272_dim1_dp_op_CI_CI
	.p2align	8
	.type	bluestein_single_fwd_len272_dim1_dp_op_CI_CI,@function
bluestein_single_fwd_len272_dim1_dp_op_CI_CI: ; @bluestein_single_fwd_len272_dim1_dp_op_CI_CI
; %bb.0:
	v_mul_u32_u24_e32 v1, 0xf10, v0
	s_mov_b64 s[66:67], s[2:3]
	s_load_dwordx4 s[16:19], s[4:5], 0x28
	v_lshrrev_b32_e32 v1, 16, v1
	s_mov_b64 s[64:65], s[0:1]
	v_mad_u64_u32 v[196:197], s[0:1], s6, 7, v[1:2]
	v_mov_b32_e32 v197, 0
	s_add_u32 s64, s64, s7
	s_waitcnt lgkmcnt(0)
	v_cmp_gt_u64_e32 vcc, s[16:17], v[196:197]
	s_addc_u32 s65, s65, 0
	s_and_saveexec_b64 s[0:1], vcc
	s_cbranch_execz .LBB0_10
; %bb.1:
	s_load_dwordx4 s[0:3], s[4:5], 0x18
	s_load_dwordx4 s[8:11], s[4:5], 0x0
	v_mul_lo_u16_e32 v1, 17, v1
	v_sub_u16_e32 v24, v0, v1
	v_lshlrev_b32_e32 v216, 4, v24
	s_waitcnt lgkmcnt(0)
	s_load_dwordx4 s[12:15], s[0:1], 0x0
	s_mov_b32 s16, 0xa6aea964
	s_mov_b32 s17, 0xbfd87de2
	;; [unrolled: 1-line block ×3, first 2 shown]
	s_waitcnt lgkmcnt(0)
	v_mad_u64_u32 v[0:1], s[0:1], s14, v196, 0
	v_mad_u64_u32 v[2:3], s[0:1], s12, v24, 0
	;; [unrolled: 1-line block ×3, first 2 shown]
	s_mov_b32 s14, 0xcf328d46
	s_mov_b32 s15, 0xbfed906b
	v_mad_u64_u32 v[5:6], s[0:1], s13, v24, v[3:4]
	v_mov_b32_e32 v1, v4
	v_lshlrev_b64 v[0:1], 4, v[0:1]
	v_mov_b32_e32 v3, v5
	v_mov_b32_e32 v6, s19
	v_lshlrev_b64 v[2:3], 4, v[2:3]
	v_add_co_u32_e32 v0, vcc, s18, v0
	v_addc_co_u32_e32 v1, vcc, v6, v1, vcc
	v_add_co_u32_e32 v0, vcc, v0, v2
	v_addc_co_u32_e32 v1, vcc, v1, v3, vcc
	global_load_dwordx4 v[64:67], v[0:1], off
	s_mul_i32 s0, s13, 0x110
	s_mul_hi_u32 s1, s12, 0x110
	s_add_i32 s0, s1, s0
	s_mul_i32 s1, s12, 0x110
	global_load_dwordx4 v[60:63], v216, s[8:9]
	global_load_dwordx4 v[44:47], v216, s[8:9] offset:272
	v_mov_b32_e32 v2, s0
	v_add_co_u32_e32 v0, vcc, s1, v0
	v_addc_co_u32_e32 v1, vcc, v1, v2, vcc
	v_mov_b32_e32 v3, s0
	v_add_co_u32_e32 v2, vcc, s1, v0
	v_addc_co_u32_e32 v3, vcc, v1, v3, vcc
	global_load_dwordx4 v[69:72], v[0:1], off
	global_load_dwordx4 v[73:76], v[2:3], off
	v_mov_b32_e32 v1, s0
	v_add_co_u32_e32 v0, vcc, s1, v2
	v_addc_co_u32_e32 v1, vcc, v3, v1, vcc
	global_load_dwordx4 v[52:55], v216, s[8:9] offset:544
	global_load_dwordx4 v[145:148], v216, s[8:9] offset:816
	v_mov_b32_e32 v3, s0
	v_add_co_u32_e32 v2, vcc, s1, v0
	v_addc_co_u32_e32 v3, vcc, v1, v3, vcc
	global_load_dwordx4 v[77:80], v[0:1], off
	global_load_dwordx4 v[81:84], v[2:3], off
	v_mov_b32_e32 v1, s0
	v_add_co_u32_e32 v0, vcc, s1, v2
	v_addc_co_u32_e32 v1, vcc, v3, v1, vcc
	global_load_dwordx4 v[85:88], v[0:1], off
	global_load_dwordx4 v[56:59], v216, s[8:9] offset:1088
	global_load_dwordx4 v[25:28], v216, s[8:9] offset:1360
	v_mov_b32_e32 v2, s0
	v_add_co_u32_e32 v0, vcc, s1, v0
	v_addc_co_u32_e32 v1, vcc, v1, v2, vcc
	global_load_dwordx4 v[89:92], v[0:1], off
	v_add_co_u32_e32 v0, vcc, s1, v0
	v_addc_co_u32_e32 v1, vcc, v1, v2, vcc
	global_load_dwordx4 v[93:96], v[0:1], off
	global_load_dwordx4 v[48:51], v216, s[8:9] offset:1632
	global_load_dwordx4 v[18:21], v216, s[8:9] offset:1904
	v_add_co_u32_e32 v0, vcc, s1, v0
	v_addc_co_u32_e32 v1, vcc, v1, v2, vcc
	global_load_dwordx4 v[97:100], v[0:1], off
	v_add_co_u32_e32 v0, vcc, s1, v0
	v_addc_co_u32_e32 v1, vcc, v1, v2, vcc
	global_load_dwordx4 v[101:104], v[0:1], off
	global_load_dwordx4 v[40:43], v216, s[8:9] offset:2176
	global_load_dwordx4 v[36:39], v216, s[8:9] offset:2448
	v_add_co_u32_e32 v0, vcc, s1, v0
	v_addc_co_u32_e32 v1, vcc, v1, v2, vcc
	v_add_co_u32_e32 v8, vcc, s1, v0
	v_addc_co_u32_e32 v9, vcc, v1, v2, vcc
	global_load_dwordx4 v[105:108], v[0:1], off
	global_load_dwordx4 v[109:112], v[8:9], off
	global_load_dwordx4 v[153:156], v216, s[8:9] offset:2720
	global_load_dwordx4 v[32:35], v216, s[8:9] offset:2992
	v_mov_b32_e32 v0, s0
	v_add_co_u32_e32 v8, vcc, s1, v8
	v_addc_co_u32_e32 v9, vcc, v9, v0, vcc
	v_add_co_u32_e32 v12, vcc, s1, v8
	v_addc_co_u32_e32 v13, vcc, v9, v0, vcc
	global_load_dwordx4 v[113:116], v[8:9], off
	global_load_dwordx4 v[117:120], v[12:13], off
	global_load_dwordx4 v[149:152], v216, s[8:9] offset:3264
	global_load_dwordx4 v[2:5], v216, s[8:9] offset:3536
	v_add_co_u32_e32 v12, vcc, s1, v12
	v_addc_co_u32_e32 v13, vcc, v13, v0, vcc
	v_add_co_u32_e32 v16, vcc, s1, v12
	global_load_dwordx4 v[121:124], v[12:13], off
	s_waitcnt vmcnt(27)
	v_mul_f64 v[129:130], v[66:67], v[62:63]
	v_addc_co_u32_e32 v17, vcc, v13, v0, vcc
	global_load_dwordx4 v[6:9], v216, s[8:9] offset:3808
	global_load_dwordx4 v[125:128], v[16:17], off
	global_load_dwordx4 v[10:13], v216, s[8:9] offset:4080
	s_load_dwordx2 s[12:13], s[4:5], 0x38
	s_nop 0
	s_load_dwordx4 s[4:7], s[2:3], 0x0
	s_mov_b32 s0, 0x24924925
	v_mul_hi_u32 v0, v196, s0
	s_mov_b32 s0, 0x667f3bcd
	v_fma_f64 v[129:130], v[64:65], v[60:61], v[129:130]
	v_mul_f64 v[64:65], v[64:65], v[62:63]
	v_sub_u32_e32 v1, v196, v0
	s_waitcnt vmcnt(28)
	v_mul_f64 v[133:134], v[71:72], v[46:47]
	v_mul_f64 v[135:136], v[69:70], v[46:47]
	v_lshrrev_b32_e32 v1, 1, v1
	v_add_u32_e32 v0, v1, v0
	v_lshrrev_b32_e32 v0, 2, v0
	v_mul_lo_u32 v0, v0, 7
	s_waitcnt vmcnt(26)
	v_mul_f64 v[137:138], v[75:76], v[54:55]
	v_mul_f64 v[139:140], v[73:74], v[54:55]
	v_fma_f64 v[131:132], v[66:67], v[60:61], -v[64:65]
	v_fma_f64 v[64:65], v[69:70], v[44:45], v[133:134]
	v_fma_f64 v[66:67], v[71:72], v[44:45], -v[135:136]
	v_sub_u32_e32 v0, v196, v0
	s_waitcnt vmcnt(24)
	v_mul_f64 v[141:142], v[79:80], v[147:148]
	v_mul_f64 v[143:144], v[77:78], v[147:148]
	v_fma_f64 v[69:70], v[73:74], v[52:53], v[137:138]
	v_fma_f64 v[71:72], v[75:76], v[52:53], -v[139:140]
	v_mul_u32_u24_e32 v68, 0x110, v0
	v_lshlrev_b32_e32 v29, 4, v68
	v_add_u32_e32 v255, v216, v29
	s_waitcnt vmcnt(20)
	v_mul_f64 v[133:134], v[87:88], v[27:28]
	v_fma_f64 v[73:74], v[77:78], v[145:146], v[141:142]
	buffer_store_dword v145, off, s[64:67], 0 offset:80 ; 4-byte Folded Spill
	s_nop 0
	buffer_store_dword v146, off, s[64:67], 0 offset:84 ; 4-byte Folded Spill
	buffer_store_dword v147, off, s[64:67], 0 offset:88 ; 4-byte Folded Spill
	;; [unrolled: 1-line block ×3, first 2 shown]
	v_mul_f64 v[77:78], v[83:84], v[58:59]
	v_mul_f64 v[135:136], v[85:86], v[27:28]
	s_mov_b32 s1, 0xbfe6a09e
	s_mov_b32 s3, 0x3fe6a09e
	s_mov_b32 s2, s0
	s_mov_b32 s19, 0x3fd87de2
	s_mov_b32 s18, s16
	s_waitcnt vmcnt(21)
	v_mul_f64 v[137:138], v[91:92], v[50:51]
	s_waitcnt vmcnt(20)
	v_mul_f64 v[141:142], v[95:96], v[20:21]
	v_fma_f64 v[77:78], v[81:82], v[56:57], v[77:78]
	v_mul_f64 v[139:140], v[89:90], v[50:51]
	s_mov_b32 s20, s14
	v_or_b32_e32 v0, v68, v24
	v_lshl_add_u32 v215, v24, 8, v29
	v_lshlrev_b32_e32 v217, 4, v0
	v_fma_f64 v[75:76], v[79:80], v[145:146], -v[143:144]
	v_mul_f64 v[79:80], v[81:82], v[58:59]
	v_fma_f64 v[81:82], v[85:86], v[25:26], v[133:134]
	buffer_store_dword v25, off, s[64:67], 0 offset:64 ; 4-byte Folded Spill
	s_nop 0
	buffer_store_dword v26, off, s[64:67], 0 offset:68 ; 4-byte Folded Spill
	buffer_store_dword v27, off, s[64:67], 0 offset:72 ; 4-byte Folded Spill
	;; [unrolled: 1-line block ×3, first 2 shown]
	v_mul_f64 v[143:144], v[93:94], v[20:21]
	v_fma_f64 v[85:86], v[89:90], v[48:49], v[137:138]
	v_fma_f64 v[89:90], v[93:94], v[18:19], v[141:142]
	buffer_store_dword v18, off, s[64:67], 0 offset:48 ; 4-byte Folded Spill
	s_nop 0
	buffer_store_dword v19, off, s[64:67], 0 offset:52 ; 4-byte Folded Spill
	buffer_store_dword v20, off, s[64:67], 0 offset:56 ; 4-byte Folded Spill
	;; [unrolled: 1-line block ×3, first 2 shown]
	s_waitcnt vmcnt(12)
	v_mul_f64 v[93:94], v[127:128], v[12:13]
	v_fma_f64 v[79:80], v[83:84], v[56:57], -v[79:80]
	v_fma_f64 v[93:94], v[125:126], v[10:11], v[93:94]
	v_fma_f64 v[83:84], v[87:88], v[25:26], -v[135:136]
	v_fma_f64 v[87:88], v[91:92], v[48:49], -v[139:140]
	;; [unrolled: 1-line block ×3, first 2 shown]
	ds_write_b128 v255, v[129:132]
	ds_write_b128 v255, v[64:67] offset:272
	ds_write_b128 v255, v[69:72] offset:544
	;; [unrolled: 1-line block ×7, first 2 shown]
	v_mul_f64 v[73:74], v[107:108], v[155:156]
	v_mul_f64 v[81:82], v[115:116], v[151:152]
	;; [unrolled: 1-line block ×8, first 2 shown]
	v_fma_f64 v[73:74], v[105:106], v[153:154], v[73:74]
	buffer_store_dword v153, off, s[64:67], 0 offset:112 ; 4-byte Folded Spill
	s_nop 0
	buffer_store_dword v154, off, s[64:67], 0 offset:116 ; 4-byte Folded Spill
	buffer_store_dword v155, off, s[64:67], 0 offset:120 ; 4-byte Folded Spill
	;; [unrolled: 1-line block ×3, first 2 shown]
	v_fma_f64 v[81:82], v[113:114], v[149:150], v[81:82]
	buffer_store_dword v149, off, s[64:67], 0 offset:96 ; 4-byte Folded Spill
	s_nop 0
	buffer_store_dword v150, off, s[64:67], 0 offset:100 ; 4-byte Folded Spill
	buffer_store_dword v151, off, s[64:67], 0 offset:104 ; 4-byte Folded Spill
	;; [unrolled: 1-line block ×3, first 2 shown]
	v_fma_f64 v[85:86], v[117:118], v[2:3], v[85:86]
	buffer_store_dword v2, off, s[64:67], 0 ; 4-byte Folded Spill
	s_nop 0
	buffer_store_dword v3, off, s[64:67], 0 offset:4 ; 4-byte Folded Spill
	buffer_store_dword v4, off, s[64:67], 0 offset:8 ; 4-byte Folded Spill
	;; [unrolled: 1-line block ×3, first 2 shown]
	v_fma_f64 v[89:90], v[121:122], v[6:7], v[89:90]
	buffer_store_dword v6, off, s[64:67], 0 offset:16 ; 4-byte Folded Spill
	s_nop 0
	buffer_store_dword v7, off, s[64:67], 0 offset:20 ; 4-byte Folded Spill
	buffer_store_dword v8, off, s[64:67], 0 offset:24 ; 4-byte Folded Spill
	;; [unrolled: 1-line block ×3, first 2 shown]
	v_mul_f64 v[95:96], v[125:126], v[12:13]
	buffer_store_dword v10, off, s[64:67], 0 offset:32 ; 4-byte Folded Spill
	s_nop 0
	buffer_store_dword v11, off, s[64:67], 0 offset:36 ; 4-byte Folded Spill
	buffer_store_dword v12, off, s[64:67], 0 offset:40 ; 4-byte Folded Spill
	;; [unrolled: 1-line block ×3, first 2 shown]
	v_mul_f64 v[64:65], v[99:100], v[42:43]
	v_mul_f64 v[66:67], v[97:98], v[42:43]
	;; [unrolled: 1-line block ×6, first 2 shown]
	v_fma_f64 v[64:65], v[97:98], v[40:41], v[64:65]
	v_fma_f64 v[66:67], v[99:100], v[40:41], -v[66:67]
	v_fma_f64 v[69:70], v[101:102], v[36:37], v[69:70]
	v_fma_f64 v[71:72], v[103:104], v[36:37], -v[71:72]
	;; [unrolled: 2-line block ×3, first 2 shown]
	v_fma_f64 v[75:76], v[107:108], v[153:154], -v[75:76]
	v_fma_f64 v[83:84], v[115:116], v[149:150], -v[83:84]
	;; [unrolled: 1-line block ×5, first 2 shown]
	ds_write_b128 v255, v[64:67] offset:2176
	ds_write_b128 v255, v[69:72] offset:2448
	;; [unrolled: 1-line block ×8, first 2 shown]
	s_waitcnt vmcnt(0) lgkmcnt(0)
	s_barrier
	ds_read_b128 v[64:67], v255
	ds_read_b128 v[69:72], v255 offset:272
	ds_read_b128 v[73:76], v255 offset:544
	;; [unrolled: 1-line block ×15, first 2 shown]
	s_waitcnt lgkmcnt(7)
	v_add_f64 v[97:98], v[64:65], -v[97:98]
	v_add_f64 v[99:100], v[66:67], -v[99:100]
	s_waitcnt lgkmcnt(3)
	v_add_f64 v[113:114], v[81:82], -v[113:114]
	v_add_f64 v[115:116], v[83:84], -v[115:116]
	v_add_f64 v[105:106], v[73:74], -v[105:106]
	v_add_f64 v[107:108], v[75:76], -v[107:108]
	s_waitcnt lgkmcnt(1)
	v_add_f64 v[121:122], v[89:90], -v[121:122]
	v_add_f64 v[123:124], v[91:92], -v[123:124]
	v_fma_f64 v[64:65], v[64:65], 2.0, -v[97:98]
	v_fma_f64 v[66:67], v[66:67], 2.0, -v[99:100]
	;; [unrolled: 1-line block ×8, first 2 shown]
	v_add_f64 v[101:102], v[69:70], -v[101:102]
	v_add_f64 v[103:104], v[71:72], -v[103:104]
	;; [unrolled: 1-line block ×6, first 2 shown]
	s_waitcnt lgkmcnt(0)
	v_add_f64 v[125:126], v[93:94], -v[125:126]
	v_add_f64 v[127:128], v[95:96], -v[127:128]
	;; [unrolled: 1-line block ×3, first 2 shown]
	v_add_f64 v[113:114], v[99:100], v[113:114]
	v_add_f64 v[123:124], v[105:106], -v[123:124]
	v_add_f64 v[121:122], v[107:108], v[121:122]
	v_fma_f64 v[69:70], v[69:70], 2.0, -v[101:102]
	v_fma_f64 v[71:72], v[71:72], 2.0, -v[103:104]
	;; [unrolled: 1-line block ×8, first 2 shown]
	v_add_f64 v[81:82], v[64:65], -v[81:82]
	v_add_f64 v[83:84], v[66:67], -v[83:84]
	;; [unrolled: 1-line block ×4, first 2 shown]
	v_fma_f64 v[97:98], v[97:98], 2.0, -v[115:116]
	v_fma_f64 v[99:100], v[99:100], 2.0, -v[113:114]
	;; [unrolled: 1-line block ×4, first 2 shown]
	v_add_f64 v[119:120], v[101:102], -v[119:120]
	v_add_f64 v[117:118], v[103:104], v[117:118]
	v_add_f64 v[127:128], v[109:110], -v[127:128]
	v_add_f64 v[125:126], v[111:112], v[125:126]
	v_add_f64 v[85:86], v[69:70], -v[85:86]
	v_add_f64 v[87:88], v[71:72], -v[87:88]
	;; [unrolled: 1-line block ×4, first 2 shown]
	v_fma_f64 v[101:102], v[101:102], 2.0, -v[119:120]
	v_fma_f64 v[103:104], v[103:104], 2.0, -v[117:118]
	;; [unrolled: 1-line block ×4, first 2 shown]
	v_fma_f64 v[129:130], v[105:106], s[0:1], v[97:98]
	v_fma_f64 v[131:132], v[107:108], s[0:1], v[99:100]
	;; [unrolled: 1-line block ×4, first 2 shown]
	v_add_f64 v[148:149], v[81:82], -v[91:92]
	v_add_f64 v[150:151], v[83:84], v[89:90]
	v_fma_f64 v[64:65], v[64:65], 2.0, -v[81:82]
	v_fma_f64 v[66:67], v[66:67], 2.0, -v[83:84]
	;; [unrolled: 1-line block ×8, first 2 shown]
	v_fma_f64 v[144:145], v[107:108], s[0:1], v[129:130]
	v_fma_f64 v[146:147], v[105:106], s[2:3], v[131:132]
	v_fma_f64 v[152:153], v[121:122], s[0:1], v[133:134]
	v_fma_f64 v[154:155], v[123:124], s[2:3], v[135:136]
	v_fma_f64 v[121:122], v[81:82], 2.0, -v[148:149]
	v_fma_f64 v[123:124], v[83:84], 2.0, -v[150:151]
	v_fma_f64 v[81:82], v[109:110], s[0:1], v[101:102]
	v_fma_f64 v[83:84], v[111:112], s[0:1], v[103:104]
	v_add_f64 v[73:74], v[64:65], -v[73:74]
	v_add_f64 v[75:76], v[66:67], -v[75:76]
	v_fma_f64 v[89:90], v[97:98], 2.0, -v[144:145]
	v_fma_f64 v[97:98], v[99:100], 2.0, -v[146:147]
	v_fma_f64 v[91:92], v[127:128], s[2:3], v[119:120]
	v_fma_f64 v[99:100], v[125:126], s[2:3], v[117:118]
	v_add_f64 v[77:78], v[69:70], -v[77:78]
	v_add_f64 v[129:130], v[71:72], -v[79:80]
	v_fma_f64 v[136:137], v[111:112], s[0:1], v[81:82]
	v_fma_f64 v[138:139], v[109:110], s[2:3], v[83:84]
	v_fma_f64 v[64:65], v[64:65], 2.0, -v[73:74]
	v_fma_f64 v[66:67], v[66:67], 2.0, -v[75:76]
	v_add_f64 v[140:141], v[85:86], -v[95:96]
	v_add_f64 v[142:143], v[87:88], v[93:94]
	v_fma_f64 v[125:126], v[125:126], s[0:1], v[91:92]
	v_fma_f64 v[156:157], v[127:128], s[2:3], v[99:100]
	v_fma_f64 v[69:70], v[69:70], 2.0, -v[77:78]
	v_fma_f64 v[71:72], v[71:72], 2.0, -v[129:130]
	;; [unrolled: 1-line block ×10, first 2 shown]
	v_add_f64 v[92:93], v[64:65], -v[69:70]
	v_fma_f64 v[69:70], v[79:80], s[14:15], v[89:90]
	v_add_f64 v[94:95], v[66:67], -v[71:72]
	v_fma_f64 v[71:72], v[81:82], s[14:15], v[97:98]
	v_fma_f64 v[104:105], v[83:84], s[0:1], v[121:122]
	;; [unrolled: 1-line block ×4, first 2 shown]
	v_fma_f64 v[132:133], v[64:65], 2.0, -v[92:93]
	v_fma_f64 v[100:101], v[81:82], s[16:17], v[69:70]
	v_fma_f64 v[69:70], v[108:109], s[16:17], v[113:114]
	;; [unrolled: 1-line block ×6, first 2 shown]
	v_fma_f64 v[134:135], v[66:67], 2.0, -v[94:95]
	v_fma_f64 v[64:65], v[136:137], s[18:19], v[144:145]
	v_fma_f64 v[66:67], v[138:139], s[18:19], v[146:147]
	;; [unrolled: 1-line block ×3, first 2 shown]
	v_fma_f64 v[82:83], v[97:98], 2.0, -v[102:103]
	v_fma_f64 v[69:70], v[140:141], s[2:3], v[148:149]
	v_fma_f64 v[71:72], v[142:143], s[2:3], v[150:151]
	;; [unrolled: 1-line block ×4, first 2 shown]
	v_fma_f64 v[84:85], v[121:122], 2.0, -v[104:105]
	v_fma_f64 v[86:87], v[123:124], 2.0, -v[106:107]
	v_add_f64 v[120:121], v[73:74], -v[129:130]
	v_add_f64 v[122:123], v[75:76], v[77:78]
	v_fma_f64 v[128:129], v[138:139], s[14:15], v[64:65]
	v_fma_f64 v[130:131], v[136:137], s[20:21], v[66:67]
	;; [unrolled: 1-line block ×6, first 2 shown]
	v_fma_f64 v[80:81], v[89:90], 2.0, -v[100:101]
	v_fma_f64 v[88:89], v[115:116], 2.0, -v[108:109]
	;; [unrolled: 1-line block ×11, first 2 shown]
	v_cmp_gt_u16_e64 s[0:1], 16, v24
	s_barrier
	ds_write_b128 v215, v[132:135]
	ds_write_b128 v215, v[80:83] offset:16
	ds_write_b128 v215, v[84:87] offset:32
	;; [unrolled: 1-line block ×15, first 2 shown]
	s_waitcnt lgkmcnt(0)
	s_barrier
	s_waitcnt lgkmcnt(0)
                                        ; implicit-def: $vgpr144_vgpr145
	s_and_saveexec_b64 s[2:3], s[0:1]
	s_cbranch_execz .LBB0_3
; %bb.2:
	ds_read_b128 v[132:135], v217
	ds_read_b128 v[80:83], v217 offset:256
	ds_read_b128 v[84:87], v217 offset:512
	;; [unrolled: 1-line block ×16, first 2 shown]
.LBB0_3:
	s_or_b64 exec, exec, s[2:3]
	v_and_b32_e32 v0, 0xf0, v216
	v_lshlrev_b32_e32 v0, 4, v0
	global_load_dwordx4 v[76:79], v0, s[10:11] offset:48
	global_load_dwordx4 v[68:71], v0, s[10:11] offset:32
	;; [unrolled: 1-line block ×3, first 2 shown]
	global_load_dwordx4 v[72:75], v0, s[10:11]
	s_mov_b32 s2, 0x370991
	s_mov_b32 s24, 0x2a9d6da3
	;; [unrolled: 1-line block ×30, first 2 shown]
	s_waitcnt vmcnt(0) lgkmcnt(14)
	v_mul_f64 v[148:149], v[82:83], v[74:75]
	v_fma_f64 v[14:15], v[80:81], v[72:73], -v[148:149]
	v_mul_f64 v[80:81], v[80:81], v[74:75]
	v_fma_f64 v[22:23], v[82:83], v[72:73], v[80:81]
	v_mul_f64 v[80:81], v[86:87], v[66:67]
	v_fma_f64 v[18:19], v[84:85], v[64:65], -v[80:81]
	v_mul_f64 v[80:81], v[84:85], v[66:67]
	v_fma_f64 v[12:13], v[86:87], v[64:65], v[80:81]
	s_waitcnt lgkmcnt(13)
	v_mul_f64 v[80:81], v[90:91], v[70:71]
	v_fma_f64 v[20:21], v[88:89], v[68:69], -v[80:81]
	v_mul_f64 v[80:81], v[88:89], v[70:71]
	v_fma_f64 v[16:17], v[90:91], v[68:69], v[80:81]
	s_waitcnt lgkmcnt(12)
	v_mul_f64 v[80:81], v[98:99], v[78:79]
	v_fma_f64 v[25:26], v[96:97], v[76:77], -v[80:81]
	v_mul_f64 v[80:81], v[96:97], v[78:79]
	v_fma_f64 v[27:28], v[98:99], v[76:77], v[80:81]
	global_load_dwordx4 v[96:99], v0, s[10:11] offset:112
	global_load_dwordx4 v[84:87], v0, s[10:11] offset:96
	;; [unrolled: 1-line block ×4, first 2 shown]
	s_waitcnt vmcnt(0) lgkmcnt(11)
	v_mul_f64 v[148:149], v[114:115], v[90:91]
	v_fma_f64 v[150:151], v[112:113], v[88:89], -v[148:149]
	v_mul_f64 v[112:113], v[112:113], v[90:91]
	v_fma_f64 v[152:153], v[114:115], v[88:89], v[112:113]
	s_waitcnt lgkmcnt(10)
	v_mul_f64 v[112:113], v[118:119], v[82:83]
	v_fma_f64 v[7:8], v[116:117], v[80:81], -v[112:113]
	v_mul_f64 v[112:113], v[116:117], v[82:83]
	v_fma_f64 v[9:10], v[118:119], v[80:81], v[112:113]
	s_waitcnt lgkmcnt(9)
	;; [unrolled: 5-line block ×3, first 2 shown]
	v_mul_f64 v[112:113], v[94:95], v[98:99]
	v_fma_f64 v[30:31], v[92:93], v[96:97], -v[112:113]
	v_mul_f64 v[92:93], v[92:93], v[98:99]
	v_fma_f64 v[1:2], v[94:95], v[96:97], v[92:93]
	global_load_dwordx4 v[92:95], v0, s[10:11] offset:176
	global_load_dwordx4 v[112:115], v0, s[10:11] offset:160
	;; [unrolled: 1-line block ×4, first 2 shown]
	s_waitcnt vmcnt(0) lgkmcnt(7)
	v_mul_f64 v[148:149], v[102:103], v[126:127]
	v_fma_f64 v[166:167], v[100:101], v[124:125], -v[148:149]
	v_mul_f64 v[100:101], v[100:101], v[126:127]
	v_fma_f64 v[168:169], v[102:103], v[124:125], v[100:101]
	s_waitcnt lgkmcnt(6)
	v_mul_f64 v[100:101], v[106:107], v[118:119]
	v_add_f64 v[211:212], v[1:2], -v[168:169]
	v_fma_f64 v[162:163], v[104:105], v[116:117], -v[100:101]
	v_mul_f64 v[100:101], v[104:105], v[118:119]
	v_add_f64 v[213:214], v[1:2], v[168:169]
	v_add_f64 v[201:202], v[3:4], -v[162:163]
	v_fma_f64 v[164:165], v[106:107], v[116:117], v[100:101]
	s_waitcnt lgkmcnt(5)
	v_mul_f64 v[100:101], v[110:111], v[114:115]
	v_add_f64 v[199:200], v[3:4], v[162:163]
	v_add_f64 v[205:206], v[5:6], -v[164:165]
	v_fma_f64 v[158:159], v[108:109], v[112:113], -v[100:101]
	v_mul_f64 v[100:101], v[108:109], v[114:115]
	v_add_f64 v[207:208], v[5:6], v[164:165]
	v_add_f64 v[203:204], v[7:8], -v[158:159]
	v_fma_f64 v[160:161], v[110:111], v[112:113], v[100:101]
	s_waitcnt lgkmcnt(4)
	v_mul_f64 v[100:101], v[122:123], v[94:95]
	v_add_f64 v[194:195], v[7:8], v[158:159]
	v_add_f64 v[197:198], v[9:10], -v[160:161]
	v_fma_f64 v[154:155], v[120:121], v[92:93], -v[100:101]
	v_mul_f64 v[100:101], v[120:121], v[94:95]
	v_add_f64 v[176:177], v[150:151], -v[154:155]
	v_fma_f64 v[156:157], v[122:123], v[92:93], v[100:101]
	global_load_dwordx4 v[108:111], v0, s[10:11] offset:240
	global_load_dwordx4 v[104:107], v0, s[10:11] offset:224
	;; [unrolled: 1-line block ×4, first 2 shown]
	s_mov_b32 s10, 0x5d8e7cdc
	s_mov_b32 s11, 0xbfd71e95
	v_add_f64 v[253:254], v[150:151], v[154:155]
	v_add_f64 v[178:179], v[152:153], -v[156:157]
	v_add_f64 v[182:183], v[152:153], v[156:157]
	s_waitcnt vmcnt(0) lgkmcnt(3)
	v_mul_f64 v[148:149], v[130:131], v[122:123]
	v_fma_f64 v[220:221], v[128:129], v[120:121], -v[148:149]
	v_mul_f64 v[128:129], v[128:129], v[122:123]
	v_add_f64 v[239:240], v[25:26], v[220:221]
	v_fma_f64 v[222:223], v[130:131], v[120:121], v[128:129]
	s_waitcnt lgkmcnt(2)
	v_mul_f64 v[128:129], v[138:139], v[102:103]
	buffer_store_dword v25, off, s[64:67], 0 offset:208 ; 4-byte Folded Spill
	s_nop 0
	buffer_store_dword v26, off, s[64:67], 0 offset:212 ; 4-byte Folded Spill
	v_add_f64 v[243:244], v[27:28], -v[222:223]
	v_fma_f64 v[209:210], v[136:137], v[100:101], -v[128:129]
	v_mul_f64 v[128:129], v[136:137], v[102:103]
	v_add_f64 v[192:193], v[27:28], v[222:223]
	v_add_f64 v[249:250], v[20:21], v[209:210]
	v_fma_f64 v[218:219], v[138:139], v[100:101], v[128:129]
	s_waitcnt lgkmcnt(1)
	v_mul_f64 v[128:129], v[142:143], v[106:107]
	v_add_f64 v[172:173], v[20:21], -v[209:210]
	v_add_f64 v[251:252], v[16:17], -v[218:219]
	v_fma_f64 v[148:149], v[140:141], v[104:105], -v[128:129]
	v_mul_f64 v[128:129], v[140:141], v[106:107]
	v_add_f64 v[188:189], v[16:17], v[218:219]
	v_mul_f64 v[234:235], v[172:173], s[20:21]
	v_mul_f64 v[140:141], v[203:204], s[38:39]
	;; [unrolled: 1-line block ×3, first 2 shown]
	v_add_f64 v[241:242], v[18:19], v[148:149]
	v_fma_f64 v[170:171], v[142:143], v[104:105], v[128:129]
	s_waitcnt lgkmcnt(0)
	v_mul_f64 v[128:129], v[146:147], v[110:111]
	v_add_f64 v[247:248], v[18:19], -v[148:149]
	v_add_f64 v[186:187], v[12:13], -v[170:171]
	v_fma_f64 v[142:143], v[144:145], v[108:109], -v[128:129]
	v_mul_f64 v[128:129], v[144:145], v[110:111]
	v_add_f64 v[190:191], v[12:13], v[170:171]
	v_mul_f64 v[230:231], v[247:248], s[24:25]
	v_mul_f64 v[228:229], v[186:187], s[24:25]
	v_add_f64 v[237:238], v[14:15], v[142:143]
	v_fma_f64 v[144:145], v[146:147], v[108:109], v[128:129]
	v_add_f64 v[245:246], v[14:15], -v[142:143]
	v_add_f64 v[146:147], v[30:31], -v[166:167]
	v_fma_f64 v[136:137], v[241:242], s[16:17], v[228:229]
	v_add_f64 v[180:181], v[22:23], -v[144:145]
	v_add_f64 v[184:185], v[22:23], v[144:145]
	v_mul_f64 v[226:227], v[245:246], s[10:11]
	v_mul_f64 v[224:225], v[180:181], s[10:11]
	v_fma_f64 v[130:131], v[184:185], s[2:3], -v[226:227]
	v_fma_f64 v[128:129], v[237:238], s[2:3], v[224:225]
	v_add_f64 v[130:131], v[134:135], v[130:131]
	v_add_f64 v[174:175], v[25:26], -v[220:221]
	v_mul_f64 v[25:26], v[146:147], s[44:45]
	v_add_f64 v[128:129], v[132:133], v[128:129]
	v_mul_f64 v[138:139], v[174:175], s[28:29]
	v_add_f64 v[128:129], v[136:137], v[128:129]
	v_fma_f64 v[136:137], v[190:191], s[16:17], -v[230:231]
	v_add_f64 v[130:131], v[136:137], v[130:131]
	v_fma_f64 v[136:137], v[249:250], s[14:15], v[232:233]
	v_add_f64 v[128:129], v[136:137], v[128:129]
	v_fma_f64 v[136:137], v[188:189], s[14:15], -v[234:235]
	v_add_f64 v[130:131], v[136:137], v[130:131]
	v_mul_f64 v[136:137], v[243:244], s[28:29]
	buffer_store_dword v136, off, s[64:67], 0 offset:128 ; 4-byte Folded Spill
	s_nop 0
	buffer_store_dword v137, off, s[64:67], 0 offset:132 ; 4-byte Folded Spill
	buffer_store_dword v138, off, s[64:67], 0 offset:136 ; 4-byte Folded Spill
	s_nop 0
	buffer_store_dword v139, off, s[64:67], 0 offset:140 ; 4-byte Folded Spill
	v_fma_f64 v[136:137], v[239:240], s[22:23], v[136:137]
	v_add_f64 v[128:129], v[136:137], v[128:129]
	v_fma_f64 v[136:137], v[192:193], s[22:23], -v[138:139]
	v_mul_f64 v[138:139], v[176:177], s[26:27]
	v_add_f64 v[130:131], v[136:137], v[130:131]
	v_mul_f64 v[136:137], v[178:179], s[26:27]
	buffer_store_dword v136, off, s[64:67], 0 offset:144 ; 4-byte Folded Spill
	s_nop 0
	buffer_store_dword v137, off, s[64:67], 0 offset:148 ; 4-byte Folded Spill
	buffer_store_dword v138, off, s[64:67], 0 offset:152 ; 4-byte Folded Spill
	s_nop 0
	buffer_store_dword v139, off, s[64:67], 0 offset:156 ; 4-byte Folded Spill
	v_fma_f64 v[136:137], v[253:254], s[18:19], v[136:137]
	v_add_f64 v[128:129], v[136:137], v[128:129]
	v_fma_f64 v[136:137], v[182:183], s[18:19], -v[138:139]
	v_mul_f64 v[138:139], v[197:198], s[38:39]
	buffer_store_dword v138, off, s[64:67], 0 offset:160 ; 4-byte Folded Spill
	s_nop 0
	buffer_store_dword v139, off, s[64:67], 0 offset:164 ; 4-byte Folded Spill
	buffer_store_dword v140, off, s[64:67], 0 offset:168 ; 4-byte Folded Spill
	s_nop 0
	buffer_store_dword v141, off, s[64:67], 0 offset:172 ; 4-byte Folded Spill
	v_add_f64 v[130:131], v[136:137], v[130:131]
	v_add_f64 v[136:137], v[9:10], v[160:161]
	v_fma_f64 v[138:139], v[194:195], s[34:35], v[138:139]
	v_add_f64 v[128:129], v[138:139], v[128:129]
	v_fma_f64 v[138:139], v[136:137], s[34:35], -v[140:141]
	v_mul_f64 v[140:141], v[201:202], s[42:43]
	v_add_f64 v[130:131], v[138:139], v[130:131]
	v_mul_f64 v[138:139], v[205:206], s[42:43]
	buffer_store_dword v138, off, s[64:67], 0 offset:176 ; 4-byte Folded Spill
	s_nop 0
	buffer_store_dword v139, off, s[64:67], 0 offset:180 ; 4-byte Folded Spill
	buffer_store_dword v140, off, s[64:67], 0 offset:184 ; 4-byte Folded Spill
	s_nop 0
	buffer_store_dword v141, off, s[64:67], 0 offset:188 ; 4-byte Folded Spill
	v_fma_f64 v[138:139], v[199:200], s[36:37], v[138:139]
	v_add_f64 v[128:129], v[138:139], v[128:129]
	v_fma_f64 v[138:139], v[207:208], s[36:37], -v[140:141]
	v_mul_f64 v[140:141], v[211:212], s[44:45]
	buffer_store_dword v140, off, s[64:67], 0 offset:192 ; 4-byte Folded Spill
	s_nop 0
	buffer_store_dword v141, off, s[64:67], 0 offset:196 ; 4-byte Folded Spill
	buffer_store_dword v25, off, s[64:67], 0 offset:200 ; 4-byte Folded Spill
	s_nop 0
	buffer_store_dword v26, off, s[64:67], 0 offset:204 ; 4-byte Folded Spill
	v_add_f64 v[130:131], v[138:139], v[130:131]
	v_add_f64 v[138:139], v[30:31], v[166:167]
	v_fma_f64 v[140:141], v[138:139], s[40:41], v[140:141]
	v_add_f64 v[128:129], v[140:141], v[128:129]
	v_fma_f64 v[140:141], v[213:214], s[40:41], -v[25:26]
	v_add_f64 v[130:131], v[140:141], v[130:131]
	s_and_saveexec_b64 s[30:31], s[0:1]
	s_cbranch_execz .LBB0_5
; %bb.4:
	v_mul_f64 v[25:26], v[237:238], s[2:3]
	v_mul_f64 v[140:141], v[184:185], s[40:41]
	s_mov_b32 s55, 0x3fc7851a
	s_mov_b32 s54, s44
	;; [unrolled: 1-line block ×6, first 2 shown]
	buffer_store_dword v25, off, s[64:67], 0 offset:264 ; 4-byte Folded Spill
	s_nop 0
	buffer_store_dword v26, off, s[64:67], 0 offset:268 ; 4-byte Folded Spill
	v_mul_f64 v[25:26], v[184:185], s[2:3]
	s_mov_b32 s53, 0x3fd71e95
	s_mov_b32 s52, s10
	;; [unrolled: 1-line block ×7, first 2 shown]
	buffer_store_dword v25, off, s[64:67], 0 offset:272 ; 4-byte Folded Spill
	s_nop 0
	buffer_store_dword v26, off, s[64:67], 0 offset:276 ; 4-byte Folded Spill
	buffer_store_dword v142, off, s[64:67], 0 offset:216 ; 4-byte Folded Spill
	s_nop 0
	buffer_store_dword v143, off, s[64:67], 0 offset:220 ; 4-byte Folded Spill
	;; [unrolled: 3-line block ×5, first 2 shown]
	v_mul_f64 v[142:143], v[190:191], s[2:3]
	v_fma_f64 v[152:153], v[245:246], s[54:55], v[140:141]
	buffer_store_dword v154, off, s[64:67], 0 offset:232 ; 4-byte Folded Spill
	s_nop 0
	buffer_store_dword v155, off, s[64:67], 0 offset:236 ; 4-byte Folded Spill
	buffer_store_dword v156, off, s[64:67], 0 offset:240 ; 4-byte Folded Spill
	s_nop 0
	buffer_store_dword v157, off, s[64:67], 0 offset:244 ; 4-byte Folded Spill
	buffer_store_dword v158, off, s[64:67], 0 offset:248 ; 4-byte Folded Spill
	s_nop 0
	buffer_store_dword v159, off, s[64:67], 0 offset:252 ; 4-byte Folded Spill
	buffer_store_dword v160, off, s[64:67], 0 offset:256 ; 4-byte Folded Spill
	s_nop 0
	buffer_store_dword v161, off, s[64:67], 0 offset:260 ; 4-byte Folded Spill
	v_mul_f64 v[156:157], v[188:189], s[36:37]
	buffer_store_dword v162, off, s[64:67], 0 offset:280 ; 4-byte Folded Spill
	s_nop 0
	buffer_store_dword v163, off, s[64:67], 0 offset:284 ; 4-byte Folded Spill
	v_fma_f64 v[160:161], v[247:248], s[10:11], v[142:143]
	v_add_f64 v[152:153], v[134:135], v[152:153]
	buffer_store_dword v164, off, s[64:67], 0 offset:296 ; 4-byte Folded Spill
	s_nop 0
	buffer_store_dword v165, off, s[64:67], 0 offset:300 ; 4-byte Folded Spill
	v_mul_f64 v[162:163], v[192:193], s[16:17]
	buffer_store_dword v166, off, s[64:67], 0 offset:320 ; 4-byte Folded Spill
	s_nop 0
	buffer_store_dword v167, off, s[64:67], 0 offset:324 ; 4-byte Folded Spill
	buffer_store_dword v168, off, s[64:67], 0 offset:328 ; 4-byte Folded Spill
	s_nop 0
	buffer_store_dword v169, off, s[64:67], 0 offset:332 ; 4-byte Folded Spill
	v_fma_f64 v[164:165], v[172:173], s[48:49], v[156:157]
	v_mul_f64 v[158:159], v[182:183], s[34:35]
	buffer_store_dword v170, off, s[64:67], 0 offset:288 ; 4-byte Folded Spill
	s_nop 0
	buffer_store_dword v171, off, s[64:67], 0 offset:292 ; 4-byte Folded Spill
	v_add_f64 v[152:153], v[160:161], v[152:153]
	buffer_store_dword v218, off, s[64:67], 0 offset:344 ; 4-byte Folded Spill
	s_nop 0
	buffer_store_dword v219, off, s[64:67], 0 offset:348 ; 4-byte Folded Spill
	v_fma_f64 v[168:169], v[174:175], s[24:25], v[162:163]
	buffer_store_dword v220, off, s[64:67], 0 offset:352 ; 4-byte Folded Spill
	s_nop 0
	buffer_store_dword v221, off, s[64:67], 0 offset:356 ; 4-byte Folded Spill
	buffer_store_dword v222, off, s[64:67], 0 offset:360 ; 4-byte Folded Spill
	s_nop 0
	buffer_store_dword v223, off, s[64:67], 0 offset:364 ; 4-byte Folded Spill
	v_mul_f64 v[154:155], v[136:137], s[14:15]
	v_mul_f64 v[170:171], v[180:181], s[44:45]
	v_fma_f64 v[222:223], v[176:177], s[56:57], v[158:159]
	v_add_f64 v[152:153], v[164:165], v[152:153]
	buffer_store_dword v224, off, s[64:67], 0 offset:432 ; 4-byte Folded Spill
	s_nop 0
	buffer_store_dword v225, off, s[64:67], 0 offset:436 ; 4-byte Folded Spill
	buffer_store_dword v226, off, s[64:67], 0 offset:448 ; 4-byte Folded Spill
	s_nop 0
	buffer_store_dword v227, off, s[64:67], 0 offset:452 ; 4-byte Folded Spill
	;; [unrolled: 3-line block ×7, first 2 shown]
	v_add_f64 v[152:153], v[168:169], v[152:153]
	buffer_store_dword v144, off, s[64:67], 0 offset:336 ; 4-byte Folded Spill
	s_nop 0
	buffer_store_dword v145, off, s[64:67], 0 offset:340 ; 4-byte Folded Spill
	buffer_store_dword v1, off, s[64:67], 0 offset:456 ; 4-byte Folded Spill
	s_nop 0
	buffer_store_dword v2, off, s[64:67], 0 offset:460 ; 4-byte Folded Spill
	v_mul_f64 v[150:151], v[207:208], s[18:19]
	v_mul_f64 v[220:221], v[184:185], s[36:37]
	;; [unrolled: 1-line block ×3, first 2 shown]
	v_fma_f64 v[230:231], v[203:204], s[20:21], v[154:155]
	v_fma_f64 v[0:1], v[237:238], s[40:41], v[170:171]
	v_add_f64 v[152:153], v[222:223], v[152:153]
	buffer_store_dword v3, off, s[64:67], 0 offset:464 ; 4-byte Folded Spill
	s_nop 0
	buffer_store_dword v4, off, s[64:67], 0 offset:468 ; 4-byte Folded Spill
	buffer_store_dword v5, off, s[64:67], 0 offset:472 ; 4-byte Folded Spill
	s_nop 0
	buffer_store_dword v6, off, s[64:67], 0 offset:476 ; 4-byte Folded Spill
	;; [unrolled: 3-line block ×3, first 2 shown]
	v_mul_f64 v[164:165], v[251:252], s[42:43]
	v_mul_f64 v[218:219], v[190:191], s[14:15]
	v_fma_f64 v[234:235], v[201:202], s[46:47], v[150:151]
	v_fma_f64 v[2:3], v[247:248], s[52:53], v[142:143]
	v_fma_f64 v[140:141], v[245:246], s[44:45], v[140:141]
	v_fma_f64 v[142:143], v[237:238], s[40:41], -v[170:171]
	v_add_f64 v[152:153], v[230:231], v[152:153]
	v_fma_f64 v[170:171], v[245:246], s[48:49], v[220:221]
	v_fma_f64 v[6:7], v[241:242], s[2:3], v[228:229]
	v_add_f64 v[0:1], v[132:133], v[0:1]
	buffer_store_dword v9, off, s[64:67], 0 offset:488 ; 4-byte Folded Spill
	s_nop 0
	buffer_store_dword v10, off, s[64:67], 0 offset:492 ; 4-byte Folded Spill
	v_mul_f64 v[226:227], v[243:244], s[60:61]
	v_fma_f64 v[144:145], v[249:250], s[36:37], v[164:165]
	v_fma_f64 v[228:229], v[241:242], s[2:3], -v[228:229]
	v_add_f64 v[140:141], v[134:135], v[140:141]
	v_add_f64 v[152:153], v[234:235], v[152:153]
	;; [unrolled: 1-line block ×3, first 2 shown]
	v_mul_f64 v[234:235], v[188:189], s[22:23]
	v_fma_f64 v[8:9], v[247:248], s[20:21], v[218:219]
	v_add_f64 v[10:11], v[134:135], v[170:171]
	v_add_f64 v[0:1], v[6:7], v[0:1]
	s_mov_b32 s58, s28
	v_mul_f64 v[166:167], v[178:179], s[38:39]
	v_fma_f64 v[4:5], v[239:240], s[16:17], v[226:227]
	v_fma_f64 v[6:7], v[172:173], s[42:43], v[156:157]
	v_add_f64 v[2:3], v[2:3], v[140:141]
	v_fma_f64 v[140:141], v[249:250], s[36:37], -v[164:165]
	v_add_f64 v[142:143], v[228:229], v[142:143]
	v_mul_f64 v[156:157], v[192:193], s[34:35]
	v_fma_f64 v[164:165], v[172:173], s[58:59], v[234:235]
	v_add_f64 v[8:9], v[8:9], v[10:11]
	v_add_f64 v[0:1], v[144:145], v[0:1]
	s_mov_b32 s51, 0x3feca52d
	s_mov_b32 s50, s20
	v_mul_f64 v[224:225], v[197:198], s[50:51]
	v_fma_f64 v[209:210], v[253:254], s[34:35], v[166:167]
	v_fma_f64 v[10:11], v[174:175], s[60:61], v[162:163]
	v_add_f64 v[2:3], v[6:7], v[2:3]
	v_fma_f64 v[6:7], v[239:240], s[16:17], -v[226:227]
	v_add_f64 v[140:141], v[140:141], v[142:143]
	v_mul_f64 v[142:143], v[182:183], s[2:3]
	v_fma_f64 v[144:145], v[174:175], s[38:39], v[156:157]
	v_add_f64 v[8:9], v[164:165], v[8:9]
	v_add_f64 v[0:1], v[4:5], v[0:1]
	v_mul_f64 v[160:161], v[205:206], s[26:27]
	v_fma_f64 v[230:231], v[194:195], s[14:15], v[224:225]
	v_fma_f64 v[4:5], v[176:177], s[38:39], v[158:159]
	v_add_f64 v[2:3], v[10:11], v[2:3]
	v_fma_f64 v[10:11], v[253:254], s[34:35], -v[166:167]
	v_add_f64 v[6:7], v[6:7], v[140:141]
	v_mul_f64 v[140:141], v[136:137], s[40:41]
	v_fma_f64 v[158:159], v[176:177], s[52:53], v[142:143]
	v_add_f64 v[8:9], v[144:145], v[8:9]
	v_add_f64 v[0:1], v[209:210], v[0:1]
	v_mul_f64 v[148:149], v[213:214], s[22:23]
	v_mul_f64 v[168:169], v[211:212], s[58:59]
	v_fma_f64 v[222:223], v[199:200], s[18:19], v[160:161]
	v_fma_f64 v[144:145], v[203:204], s[50:51], v[154:155]
	v_add_f64 v[6:7], v[10:11], v[6:7]
	v_mul_f64 v[10:11], v[207:208], s[16:17]
	v_fma_f64 v[154:155], v[203:204], s[54:55], v[140:141]
	v_add_f64 v[8:9], v[158:159], v[8:9]
	v_add_f64 v[0:1], v[230:231], v[0:1]
	;; [unrolled: 1-line block ×3, first 2 shown]
	v_fma_f64 v[4:5], v[194:195], s[14:15], -v[224:225]
	v_fma_f64 v[232:233], v[146:147], s[28:29], v[148:149]
	v_fma_f64 v[150:151], v[201:202], s[26:27], v[150:151]
	;; [unrolled: 1-line block ×4, first 2 shown]
	v_add_f64 v[8:9], v[154:155], v[8:9]
	v_fma_f64 v[154:155], v[138:139], s[22:23], v[168:169]
	v_add_f64 v[0:1], v[222:223], v[0:1]
	v_add_f64 v[2:3], v[144:145], v[2:3]
	v_fma_f64 v[144:145], v[199:200], s[18:19], -v[160:161]
	v_add_f64 v[4:5], v[4:5], v[6:7]
	v_mul_f64 v[6:7], v[213:214], s[18:19]
	v_add_f64 v[160:161], v[232:233], v[152:153]
	v_add_f64 v[8:9], v[158:159], v[8:9]
	v_mul_f64 v[164:165], v[184:185], s[34:35]
	v_add_f64 v[158:159], v[154:155], v[0:1]
	v_add_f64 v[2:3], v[150:151], v[2:3]
	v_fma_f64 v[150:151], v[138:139], s[22:23], -v[168:169]
	v_add_f64 v[4:5], v[144:145], v[4:5]
	v_fma_f64 v[144:145], v[146:147], s[46:47], v[6:7]
	buffer_store_dword v158, off, s[64:67], 0 offset:376 ; 4-byte Folded Spill
	s_nop 0
	buffer_store_dword v159, off, s[64:67], 0 offset:380 ; 4-byte Folded Spill
	buffer_store_dword v160, off, s[64:67], 0 offset:384 ; 4-byte Folded Spill
	;; [unrolled: 1-line block ×3, first 2 shown]
	v_add_f64 v[160:161], v[148:149], v[2:3]
	v_mul_f64 v[154:155], v[251:252], s[28:29]
	v_add_f64 v[158:159], v[150:151], v[4:5]
	v_add_f64 v[230:231], v[144:145], v[8:9]
	v_mul_f64 v[144:145], v[180:181], s[42:43]
	buffer_store_dword v158, off, s[64:67], 0 offset:392 ; 4-byte Folded Spill
	s_nop 0
	buffer_store_dword v159, off, s[64:67], 0 offset:396 ; 4-byte Folded Spill
	buffer_store_dword v160, off, s[64:67], 0 offset:400 ; 4-byte Folded Spill
	;; [unrolled: 1-line block ×3, first 2 shown]
	v_mul_f64 v[160:161], v[186:187], s[50:51]
	v_fma_f64 v[166:167], v[237:238], s[36:37], v[144:145]
	v_fma_f64 v[170:171], v[245:246], s[42:43], v[220:221]
	v_fma_f64 v[144:145], v[237:238], s[36:37], -v[144:145]
	v_mul_f64 v[222:223], v[190:191], s[18:19]
	v_fma_f64 v[224:225], v[245:246], s[56:57], v[164:165]
	v_mul_f64 v[148:149], v[243:244], s[56:57]
	v_fma_f64 v[209:210], v[249:250], s[22:23], v[154:155]
	v_fma_f64 v[220:221], v[241:242], s[14:15], v[160:161]
	v_add_f64 v[166:167], v[132:133], v[166:167]
	v_fma_f64 v[218:219], v[247:248], s[50:51], v[218:219]
	v_add_f64 v[170:171], v[134:135], v[170:171]
	v_fma_f64 v[160:161], v[241:242], s[14:15], -v[160:161]
	v_add_f64 v[144:145], v[132:133], v[144:145]
	v_mul_f64 v[226:227], v[188:189], s[2:3]
	v_fma_f64 v[228:229], v[247:248], s[26:27], v[222:223]
	v_add_f64 v[224:225], v[134:135], v[224:225]
	v_add_f64 v[166:167], v[220:221], v[166:167]
	v_mul_f64 v[4:5], v[178:179], s[10:11]
	v_fma_f64 v[168:169], v[239:240], s[34:35], v[148:149]
	v_fma_f64 v[220:221], v[172:173], s[28:29], v[234:235]
	v_add_f64 v[170:171], v[218:219], v[170:171]
	v_fma_f64 v[154:155], v[249:250], s[22:23], -v[154:155]
	v_add_f64 v[144:145], v[160:161], v[144:145]
	v_mul_f64 v[160:161], v[192:193], s[36:37]
	v_fma_f64 v[218:219], v[172:173], s[52:53], v[226:227]
	v_add_f64 v[224:225], v[228:229], v[224:225]
	v_add_f64 v[166:167], v[209:210], v[166:167]
	v_mul_f64 v[2:3], v[197:198], s[44:45]
	v_fma_f64 v[162:163], v[253:254], s[2:3], v[4:5]
	;; [unrolled: 10-line block ×4, first 2 shown]
	v_fma_f64 v[140:141], v[203:204], s[44:45], v[140:141]
	v_add_f64 v[142:143], v[142:143], v[156:157]
	v_fma_f64 v[2:3], v[194:195], s[40:41], -v[2:3]
	v_add_f64 v[4:5], v[4:5], v[144:145]
	v_mul_f64 v[144:145], v[207:208], s[40:41]
	v_fma_f64 v[156:157], v[203:204], s[60:61], v[148:149]
	v_add_f64 v[154:155], v[168:169], v[154:155]
	v_add_f64 v[158:159], v[158:159], v[162:163]
	v_fma_f64 v[8:9], v[138:139], s[18:19], v[152:153]
	v_fma_f64 v[10:11], v[201:202], s[60:61], v[10:11]
	v_add_f64 v[140:141], v[140:141], v[142:143]
	v_fma_f64 v[0:1], v[199:200], s[16:17], -v[0:1]
	v_add_f64 v[2:3], v[2:3], v[4:5]
	v_mul_f64 v[4:5], v[213:214], s[14:15]
	v_fma_f64 v[142:143], v[201:202], s[54:55], v[144:145]
	v_add_f64 v[154:155], v[156:157], v[154:155]
	v_add_f64 v[150:151], v[150:151], v[158:159]
	v_mul_f64 v[156:157], v[180:181], s[38:39]
	v_fma_f64 v[6:7], v[146:147], s[26:27], v[6:7]
	v_add_f64 v[10:11], v[10:11], v[140:141]
	v_add_f64 v[0:1], v[0:1], v[2:3]
	v_fma_f64 v[2:3], v[146:147], s[20:21], v[4:5]
	v_mul_f64 v[168:169], v[184:185], s[18:19]
	v_add_f64 v[142:143], v[142:143], v[154:155]
	v_add_f64 v[228:229], v[8:9], v[150:151]
	v_mul_f64 v[8:9], v[186:187], s[46:47]
	v_fma_f64 v[158:159], v[237:238], s[34:35], v[156:157]
	v_add_f64 v[154:155], v[6:7], v[10:11]
	v_mul_f64 v[166:167], v[243:244], s[42:43]
	v_fma_f64 v[156:157], v[237:238], s[34:35], -v[156:157]
	v_mul_f64 v[220:221], v[190:191], s[36:37]
	v_add_f64 v[150:151], v[2:3], v[142:143]
	v_mul_f64 v[2:3], v[251:252], s[10:11]
	v_fma_f64 v[6:7], v[241:242], s[18:19], v[8:9]
	v_add_f64 v[10:11], v[132:133], v[158:159]
	v_fma_f64 v[142:143], v[245:246], s[38:39], v[164:165]
	buffer_store_dword v228, off, s[64:67], 0 offset:496 ; 4-byte Folded Spill
	s_nop 0
	buffer_store_dword v229, off, s[64:67], 0 offset:500 ; 4-byte Folded Spill
	buffer_store_dword v230, off, s[64:67], 0 offset:504 ; 4-byte Folded Spill
	;; [unrolled: 1-line block ×3, first 2 shown]
	v_mul_f64 v[224:225], v[178:179], s[58:59]
	v_fma_f64 v[228:229], v[239:240], s[36:37], v[166:167]
	v_fma_f64 v[8:9], v[241:242], s[18:19], -v[8:9]
	v_fma_f64 v[170:171], v[249:250], s[2:3], v[2:3]
	v_fma_f64 v[140:141], v[138:139], s[18:19], -v[152:153]
	v_add_f64 v[6:7], v[6:7], v[10:11]
	v_fma_f64 v[10:11], v[247:248], s[46:47], v[222:223]
	v_add_f64 v[142:143], v[134:135], v[142:143]
	v_fma_f64 v[222:223], v[245:246], s[46:47], v[168:169]
	v_mul_f64 v[158:159], v[197:198], s[24:25]
	v_fma_f64 v[226:227], v[172:173], s[10:11], v[226:227]
	v_fma_f64 v[2:3], v[249:250], s[2:3], -v[2:3]
	v_add_f64 v[152:153], v[140:141], v[0:1]
	v_add_f64 v[6:7], v[170:171], v[6:7]
	v_mul_f64 v[0:1], v[205:206], s[44:45]
	v_add_f64 v[10:11], v[10:11], v[142:143]
	v_add_f64 v[142:143], v[132:133], v[156:157]
	v_fma_f64 v[156:157], v[247:248], s[42:43], v[220:221]
	v_add_f64 v[170:171], v[134:135], v[222:223]
	v_mul_f64 v[222:223], v[188:189], s[16:17]
	v_fma_f64 v[218:219], v[194:195], s[16:17], v[158:159]
	v_add_f64 v[6:7], v[228:229], v[6:7]
	v_fma_f64 v[228:229], v[253:254], s[22:23], v[224:225]
	v_fma_f64 v[160:161], v[174:175], s[42:43], v[160:161]
	v_add_f64 v[8:9], v[8:9], v[142:143]
	v_mul_f64 v[142:143], v[192:193], s[14:15]
	v_add_f64 v[156:157], v[156:157], v[170:171]
	v_fma_f64 v[170:171], v[172:173], s[24:25], v[222:223]
	v_add_f64 v[10:11], v[226:227], v[10:11]
	v_fma_f64 v[166:167], v[239:240], s[36:37], -v[166:167]
	v_add_f64 v[6:7], v[228:229], v[6:7]
	v_fma_f64 v[164:165], v[199:200], s[40:41], v[0:1]
	v_add_f64 v[2:3], v[2:3], v[8:9]
	v_mul_f64 v[8:9], v[182:183], s[40:41]
	v_fma_f64 v[226:227], v[174:175], s[50:51], v[142:143]
	v_add_f64 v[156:157], v[170:171], v[156:157]
	v_fma_f64 v[170:171], v[176:177], s[58:59], v[209:210]
	v_add_f64 v[10:11], v[160:161], v[10:11]
	v_add_f64 v[6:7], v[218:219], v[6:7]
	v_fma_f64 v[160:161], v[253:254], s[22:23], -v[224:225]
	v_add_f64 v[2:3], v[166:167], v[2:3]
	v_mul_f64 v[166:167], v[136:137], s[22:23]
	v_fma_f64 v[209:210], v[176:177], s[54:55], v[8:9]
	v_add_f64 v[156:157], v[226:227], v[156:157]
	v_fma_f64 v[148:149], v[203:204], s[24:25], v[148:149]
	v_add_f64 v[10:11], v[170:171], v[10:11]
	v_add_f64 v[6:7], v[164:165], v[6:7]
	v_fma_f64 v[158:159], v[194:195], s[16:17], -v[158:159]
	v_add_f64 v[2:3], v[160:161], v[2:3]
	v_mul_f64 v[164:165], v[207:208], s[2:3]
	v_fma_f64 v[160:161], v[203:204], s[28:29], v[166:167]
	v_add_f64 v[156:157], v[209:210], v[156:157]
	v_mul_f64 v[162:163], v[211:212], s[50:51]
	v_add_f64 v[10:11], v[148:149], v[10:11]
	v_mul_f64 v[170:171], v[180:181], s[26:27]
	v_fma_f64 v[0:1], v[199:200], s[40:41], -v[0:1]
	v_add_f64 v[2:3], v[158:159], v[2:3]
	v_mul_f64 v[209:210], v[213:214], s[34:35]
	v_fma_f64 v[148:149], v[201:202], s[52:53], v[164:165]
	v_add_f64 v[156:157], v[160:161], v[156:157]
	v_fma_f64 v[140:141], v[138:139], s[14:15], v[162:163]
	v_fma_f64 v[144:145], v[201:202], s[44:45], v[144:145]
	v_mul_f64 v[218:219], v[186:187], s[48:49]
	v_fma_f64 v[158:159], v[237:238], s[18:19], v[170:171]
	v_add_f64 v[0:1], v[0:1], v[2:3]
	v_fma_f64 v[2:3], v[146:147], s[56:57], v[209:210]
	v_fma_f64 v[4:5], v[146:147], s[50:51], v[4:5]
	v_add_f64 v[156:157], v[148:149], v[156:157]
	v_mul_f64 v[224:225], v[251:252], s[60:61]
	v_add_f64 v[10:11], v[144:145], v[10:11]
	v_fma_f64 v[144:145], v[138:139], s[14:15], -v[162:163]
	v_fma_f64 v[226:227], v[241:242], s[36:37], v[218:219]
	v_add_f64 v[228:229], v[132:133], v[158:159]
	v_add_f64 v[148:149], v[140:141], v[6:7]
	v_mul_f64 v[6:7], v[184:185], s[22:23]
	v_add_f64 v[158:159], v[2:3], v[156:157]
	v_fma_f64 v[2:3], v[245:246], s[26:27], v[168:169]
	v_fma_f64 v[140:141], v[237:238], s[18:19], -v[170:171]
	v_add_f64 v[162:163], v[4:5], v[10:11]
	v_add_f64 v[160:161], v[144:145], v[0:1]
	v_mul_f64 v[0:1], v[243:244], s[20:21]
	v_fma_f64 v[4:5], v[249:250], s[16:17], v[224:225]
	v_add_f64 v[10:11], v[226:227], v[228:229]
	v_fma_f64 v[168:169], v[247:248], s[48:49], v[220:221]
	v_add_f64 v[2:3], v[134:135], v[2:3]
	v_mul_f64 v[220:221], v[190:191], s[40:41]
	v_fma_f64 v[170:171], v[245:246], s[58:59], v[6:7]
	v_fma_f64 v[218:219], v[241:242], s[36:37], -v[218:219]
	v_add_f64 v[140:141], v[132:133], v[140:141]
	v_mul_f64 v[156:157], v[178:179], s[44:45]
	v_fma_f64 v[226:227], v[239:240], s[14:15], v[0:1]
	v_add_f64 v[4:5], v[4:5], v[10:11]
	v_fma_f64 v[222:223], v[172:173], s[60:61], v[222:223]
	v_add_f64 v[2:3], v[168:169], v[2:3]
	;; [unrolled: 2-line block ×3, first 2 shown]
	v_add_f64 v[140:141], v[218:219], v[140:141]
	v_mul_f64 v[218:219], v[188:189], s[18:19]
	v_fma_f64 v[224:225], v[249:250], s[16:17], -v[224:225]
	v_fma_f64 v[10:11], v[253:254], s[40:41], v[156:157]
	v_add_f64 v[4:5], v[226:227], v[4:5]
	v_mul_f64 v[226:227], v[197:198], s[58:59]
	v_fma_f64 v[142:143], v[174:175], s[20:21], v[142:143]
	v_add_f64 v[2:3], v[222:223], v[2:3]
	v_mul_f64 v[222:223], v[192:193], s[2:3]
	v_add_f64 v[168:169], v[168:169], v[170:171]
	v_fma_f64 v[170:171], v[172:173], s[26:27], v[218:219]
	v_add_f64 v[140:141], v[224:225], v[140:141]
	v_fma_f64 v[0:1], v[239:240], s[14:15], -v[0:1]
	v_mul_f64 v[224:225], v[205:206], s[10:11]
	v_add_f64 v[4:5], v[10:11], v[4:5]
	v_fma_f64 v[10:11], v[194:195], s[22:23], v[226:227]
	v_add_f64 v[2:3], v[142:143], v[2:3]
	v_fma_f64 v[142:143], v[174:175], s[10:11], v[222:223]
	v_add_f64 v[168:169], v[170:171], v[168:169]
	v_mul_f64 v[228:229], v[182:183], s[14:15]
	v_fma_f64 v[8:9], v[176:177], s[44:45], v[8:9]
	v_add_f64 v[0:1], v[0:1], v[140:141]
	v_fma_f64 v[156:157], v[253:254], s[40:41], -v[156:157]
	v_fma_f64 v[140:141], v[199:200], s[2:3], v[224:225]
	v_add_f64 v[4:5], v[10:11], v[4:5]
	v_mul_f64 v[10:11], v[136:137], s[36:37]
	v_add_f64 v[142:143], v[142:143], v[168:169]
	v_fma_f64 v[168:169], v[176:177], s[50:51], v[228:229]
	v_fma_f64 v[166:167], v[203:204], s[58:59], v[166:167]
	v_add_f64 v[2:3], v[8:9], v[2:3]
	v_fma_f64 v[8:9], v[194:195], s[22:23], -v[226:227]
	v_add_f64 v[0:1], v[156:157], v[0:1]
	v_mul_f64 v[230:231], v[211:212], s[38:39]
	v_add_f64 v[4:5], v[140:141], v[4:5]
	v_mul_f64 v[140:141], v[207:208], s[34:35]
	v_fma_f64 v[156:157], v[203:204], s[48:49], v[10:11]
	v_add_f64 v[142:143], v[168:169], v[142:143]
	v_fma_f64 v[164:165], v[201:202], s[10:11], v[164:165]
	v_add_f64 v[2:3], v[166:167], v[2:3]
	v_fma_f64 v[166:167], v[199:200], s[2:3], -v[224:225]
	v_add_f64 v[0:1], v[8:9], v[0:1]
	v_mul_f64 v[224:225], v[180:181], s[28:29]
	v_fma_f64 v[144:145], v[138:139], s[34:35], v[230:231]
	v_mul_f64 v[8:9], v[213:214], s[16:17]
	v_fma_f64 v[168:169], v[201:202], s[38:39], v[140:141]
	v_add_f64 v[142:143], v[156:157], v[142:143]
	v_fma_f64 v[170:171], v[146:147], s[38:39], v[209:210]
	v_add_f64 v[2:3], v[164:165], v[2:3]
	v_mul_f64 v[209:210], v[186:187], s[44:45]
	v_add_f64 v[0:1], v[166:167], v[0:1]
	v_fma_f64 v[166:167], v[237:238], s[22:23], v[224:225]
	v_fma_f64 v[164:165], v[138:139], s[34:35], -v[230:231]
	v_fma_f64 v[226:227], v[146:147], s[24:25], v[8:9]
	v_add_f64 v[142:143], v[168:169], v[142:143]
	v_add_f64 v[156:157], v[144:145], v[4:5]
	v_mul_f64 v[4:5], v[251:252], s[46:47]
	v_add_f64 v[170:171], v[170:171], v[2:3]
	v_fma_f64 v[2:3], v[241:242], s[40:41], v[209:210]
	v_fma_f64 v[6:7], v[245:246], s[28:29], v[6:7]
	v_add_f64 v[144:145], v[132:133], v[166:167]
	v_add_f64 v[168:169], v[164:165], v[0:1]
	;; [unrolled: 1-line block ×3, first 2 shown]
	v_fma_f64 v[0:1], v[237:238], s[22:23], -v[224:225]
	v_mul_f64 v[142:143], v[243:244], s[52:53]
	v_fma_f64 v[164:165], v[249:250], s[18:19], v[4:5]
	v_fma_f64 v[220:221], v[247:248], s[44:45], v[220:221]
	v_add_f64 v[6:7], v[134:135], v[6:7]
	v_add_f64 v[2:3], v[2:3], v[144:145]
	v_fma_f64 v[209:210], v[241:242], s[40:41], -v[209:210]
	v_mul_f64 v[224:225], v[178:179], s[20:21]
	v_add_f64 v[0:1], v[132:133], v[0:1]
	v_fma_f64 v[226:227], v[239:240], s[2:3], v[142:143]
	v_fma_f64 v[218:219], v[172:173], s[46:47], v[218:219]
	v_fma_f64 v[4:5], v[249:250], s[18:19], -v[4:5]
	v_add_f64 v[6:7], v[220:221], v[6:7]
	v_add_f64 v[2:3], v[164:165], v[2:3]
	v_fma_f64 v[222:223], v[174:175], s[52:53], v[222:223]
	v_fma_f64 v[220:221], v[253:254], s[14:15], v[224:225]
	v_add_f64 v[0:1], v[209:210], v[0:1]
	v_mul_f64 v[209:210], v[197:198], s[42:43]
	v_fma_f64 v[142:143], v[239:240], s[2:3], -v[142:143]
	v_fma_f64 v[228:229], v[176:177], s[20:21], v[228:229]
	v_add_f64 v[6:7], v[218:219], v[6:7]
	v_add_f64 v[2:3], v[226:227], v[2:3]
	v_mul_f64 v[218:219], v[184:185], s[14:15]
	v_fma_f64 v[224:225], v[253:254], s[14:15], -v[224:225]
	v_add_f64 v[0:1], v[4:5], v[0:1]
	v_mul_f64 v[4:5], v[205:206], s[56:57]
	v_fma_f64 v[226:227], v[194:195], s[36:37], v[209:210]
	v_fma_f64 v[10:11], v[203:204], s[42:43], v[10:11]
	v_add_f64 v[6:7], v[222:223], v[6:7]
	v_add_f64 v[2:3], v[220:221], v[2:3]
	v_mul_f64 v[220:221], v[190:191], s[34:35]
	v_fma_f64 v[222:223], v[245:246], s[50:51], v[218:219]
	v_add_f64 v[0:1], v[142:143], v[0:1]
	v_fma_f64 v[142:143], v[199:200], s[34:35], v[4:5]
	v_mul_f64 v[144:145], v[211:212], s[60:61]
	v_fma_f64 v[140:141], v[201:202], s[56:57], v[140:141]
	v_add_f64 v[6:7], v[228:229], v[6:7]
	v_add_f64 v[2:3], v[226:227], v[2:3]
	v_mul_f64 v[226:227], v[188:189], s[40:41]
	v_fma_f64 v[228:229], v[247:248], s[56:57], v[220:221]
	v_add_f64 v[222:223], v[134:135], v[222:223]
	v_add_f64 v[0:1], v[224:225], v[0:1]
	;; [unrolled: 4-line block ×3, first 2 shown]
	v_fma_f64 v[10:11], v[172:173], s[44:45], v[226:227]
	v_fma_f64 v[209:210], v[194:195], s[36:37], -v[209:210]
	v_add_f64 v[142:143], v[228:229], v[222:223]
	v_mul_f64 v[222:223], v[192:193], s[18:19]
	v_fma_f64 v[8:9], v[146:147], s[60:61], v[8:9]
	v_fma_f64 v[228:229], v[237:238], s[14:15], v[224:225]
	v_add_f64 v[6:7], v[140:141], v[6:7]
	v_fma_f64 v[140:141], v[138:139], s[16:17], -v[144:145]
	v_mul_f64 v[144:145], v[182:183], s[16:17]
	v_fma_f64 v[4:5], v[199:200], s[34:35], -v[4:5]
	v_add_f64 v[10:11], v[10:11], v[142:143]
	v_fma_f64 v[230:231], v[174:175], s[26:27], v[222:223]
	v_add_f64 v[0:1], v[209:210], v[0:1]
	v_mul_f64 v[209:210], v[186:187], s[38:39]
	v_add_f64 v[164:165], v[164:165], v[2:3]
	v_add_f64 v[142:143], v[8:9], v[6:7]
	v_mul_f64 v[2:3], v[136:137], s[2:3]
	v_add_f64 v[8:9], v[132:133], v[228:229]
	v_fma_f64 v[228:229], v[176:177], s[24:25], v[144:145]
	v_add_f64 v[10:11], v[230:231], v[10:11]
	v_fma_f64 v[224:225], v[237:238], s[14:15], -v[224:225]
	v_add_f64 v[0:1], v[4:5], v[0:1]
	v_mul_f64 v[4:5], v[251:252], s[54:55]
	v_fma_f64 v[6:7], v[241:242], s[34:35], v[209:210]
	v_fma_f64 v[218:219], v[245:246], s[20:21], v[218:219]
	v_fma_f64 v[209:210], v[241:242], s[34:35], -v[209:210]
	buffer_load_dword v25, off, s[64:67], 0 offset:208 ; 4-byte Folded Reload
	buffer_load_dword v26, off, s[64:67], 0 offset:212 ; 4-byte Folded Reload
	v_add_f64 v[10:11], v[228:229], v[10:11]
	v_fma_f64 v[228:229], v[203:204], s[52:53], v[2:3]
	v_add_f64 v[224:225], v[132:133], v[224:225]
	v_add_f64 v[140:141], v[140:141], v[0:1]
	v_mul_f64 v[0:1], v[243:244], s[46:47]
	v_fma_f64 v[230:231], v[249:250], s[40:41], v[4:5]
	v_add_f64 v[6:7], v[6:7], v[8:9]
	v_fma_f64 v[8:9], v[247:248], s[38:39], v[220:221]
	v_add_f64 v[218:219], v[134:135], v[218:219]
	v_add_f64 v[10:11], v[228:229], v[10:11]
	v_mul_f64 v[228:229], v[207:208], s[22:23]
	v_add_f64 v[209:210], v[209:210], v[224:225]
	v_fma_f64 v[4:5], v[249:250], s[40:41], -v[4:5]
	v_mul_f64 v[224:225], v[197:198], s[10:11]
	v_add_f64 v[6:7], v[230:231], v[6:7]
	v_fma_f64 v[230:231], v[239:240], s[18:19], v[0:1]
	v_add_f64 v[8:9], v[8:9], v[218:219]
	v_mul_f64 v[218:219], v[178:179], s[60:61]
	v_fma_f64 v[0:1], v[239:240], s[18:19], -v[0:1]
	v_fma_f64 v[226:227], v[172:173], s[54:55], v[226:227]
	v_add_f64 v[4:5], v[4:5], v[209:210]
	v_fma_f64 v[209:210], v[201:202], s[58:59], v[228:229]
	v_fma_f64 v[222:223], v[174:175], s[46:47], v[222:223]
	v_add_f64 v[6:7], v[230:231], v[6:7]
	v_mul_f64 v[186:187], v[186:187], s[28:29]
	v_fma_f64 v[230:231], v[253:254], s[16:17], v[218:219]
	v_mul_f64 v[184:185], v[184:185], s[16:17]
	v_add_f64 v[8:9], v[226:227], v[8:9]
	v_add_f64 v[0:1], v[0:1], v[4:5]
	;; [unrolled: 1-line block ×3, first 2 shown]
	v_fma_f64 v[209:210], v[253:254], s[16:17], -v[218:219]
	v_mul_f64 v[4:5], v[205:206], s[28:29]
	v_fma_f64 v[144:145], v[176:177], s[60:61], v[144:145]
	v_add_f64 v[6:7], v[230:231], v[6:7]
	v_fma_f64 v[230:231], v[194:195], s[2:3], v[224:225]
	v_add_f64 v[8:9], v[222:223], v[8:9]
	v_mul_f64 v[226:227], v[190:191], s[16:17]
	v_mul_f64 v[190:191], v[190:191], s[22:23]
	v_add_f64 v[0:1], v[209:210], v[0:1]
	v_fma_f64 v[209:210], v[194:195], s[2:3], -v[224:225]
	v_mul_f64 v[224:225], v[180:181], s[24:25]
	v_fma_f64 v[180:181], v[199:200], s[22:23], v[4:5]
	v_add_f64 v[6:7], v[230:231], v[6:7]
	v_fma_f64 v[222:223], v[245:246], s[60:61], v[184:185]
	v_add_f64 v[8:9], v[144:145], v[8:9]
	;; [unrolled: 2-line block ×3, first 2 shown]
	v_add_f64 v[0:1], v[209:210], v[0:1]
	v_fma_f64 v[209:210], v[237:238], s[16:17], v[224:225]
	v_fma_f64 v[144:145], v[247:248], s[58:59], v[190:191]
	v_add_f64 v[6:7], v[180:181], v[6:7]
	v_fma_f64 v[180:181], v[241:242], s[22:23], v[186:187]
	v_add_f64 v[218:219], v[134:135], v[222:223]
	v_mul_f64 v[222:223], v[188:189], s[34:35]
	v_add_f64 v[2:3], v[2:3], v[8:9]
	v_fma_f64 v[228:229], v[201:202], s[28:29], v[228:229]
	v_add_f64 v[209:210], v[132:133], v[209:210]
	v_fma_f64 v[184:185], v[245:246], s[24:25], v[184:185]
	v_mul_f64 v[245:246], v[213:214], s[36:37]
	v_add_f64 v[232:233], v[232:233], v[12:13]
	v_add_f64 v[144:145], v[144:145], v[218:219]
	v_fma_f64 v[218:219], v[172:173], s[56:57], v[222:223]
	v_mul_f64 v[8:9], v[192:193], s[40:41]
	v_add_f64 v[2:3], v[228:229], v[2:3]
	v_add_f64 v[209:210], v[180:181], v[209:210]
	;; [unrolled: 1-line block ×3, first 2 shown]
	v_fma_f64 v[190:191], v[247:248], s[28:29], v[190:191]
	v_add_f64 v[184:185], v[134:135], v[184:185]
	v_fma_f64 v[247:248], v[146:147], s[48:49], v[245:246]
	v_add_f64 v[232:233], v[232:233], v[16:17]
	v_mul_f64 v[16:17], v[211:212], s[42:43]
	v_add_f64 v[144:145], v[218:219], v[144:145]
	v_fma_f64 v[218:219], v[174:175], s[54:55], v[8:9]
	v_add_f64 v[180:181], v[180:181], v[18:19]
	v_fma_f64 v[18:19], v[146:147], s[42:43], v[245:246]
	v_add_f64 v[22:23], v[190:191], v[184:185]
	v_mul_f64 v[184:185], v[213:214], s[40:41]
	v_mul_f64 v[190:191], v[213:214], s[2:3]
	v_fma_f64 v[8:9], v[174:175], s[44:45], v[8:9]
	v_fma_f64 v[213:214], v[138:139], s[36:37], v[16:17]
	v_mul_f64 v[12:13], v[136:137], s[34:35]
	v_add_f64 v[245:246], v[180:181], v[20:21]
	v_add_f64 v[174:175], v[18:19], v[2:3]
	v_fma_f64 v[2:3], v[138:139], s[36:37], -v[16:17]
	v_add_f64 v[16:17], v[232:233], v[27:28]
	v_add_f64 v[180:181], v[247:248], v[10:11]
	v_mul_f64 v[10:11], v[251:252], s[38:39]
	v_mul_f64 v[136:137], v[136:137], s[18:19]
	v_add_f64 v[144:145], v[218:219], v[144:145]
	s_waitcnt vmcnt(0)
	v_add_f64 v[232:233], v[245:246], v[25:26]
	buffer_load_dword v25, off, s[64:67], 0 offset:312 ; 4-byte Folded Reload
	buffer_load_dword v26, off, s[64:67], 0 offset:316 ; 4-byte Folded Reload
	v_mul_f64 v[218:219], v[182:183], s[18:19]
	v_mul_f64 v[182:183], v[182:183], s[36:37]
	v_fma_f64 v[14:15], v[172:173], s[38:39], v[222:223]
	v_fma_f64 v[18:19], v[249:250], s[34:35], v[10:11]
	v_mul_f64 v[243:244], v[243:244], s[44:45]
	v_mul_f64 v[178:179], v[178:179], s[48:49]
	v_mul_f64 v[222:223], v[207:208], s[36:37]
	v_mul_f64 v[207:208], v[207:208], s[14:15]
	v_mul_f64 v[220:221], v[241:242], s[16:17]
	v_fma_f64 v[245:246], v[176:177], s[42:43], v[182:183]
	v_add_f64 v[14:15], v[14:15], v[22:23]
	v_add_f64 v[18:19], v[18:19], v[209:210]
	v_fma_f64 v[209:210], v[203:204], s[26:27], v[136:137]
	v_fma_f64 v[136:137], v[203:204], s[46:47], v[136:137]
	;; [unrolled: 1-line block ×5, first 2 shown]
	v_add_f64 v[144:145], v[245:246], v[144:145]
	v_fma_f64 v[245:246], v[239:240], s[40:41], v[243:244]
	v_add_f64 v[8:9], v[8:9], v[14:15]
	v_mul_f64 v[14:15], v[197:198], s[46:47]
	v_fma_f64 v[197:198], v[253:254], s[36:37], v[178:179]
	v_fma_f64 v[182:183], v[201:202], s[20:21], v[207:208]
	v_mul_f64 v[188:189], v[188:189], s[14:15]
	v_mul_f64 v[230:231], v[249:250], s[14:15]
	v_add_f64 v[144:145], v[209:210], v[144:145]
	v_add_f64 v[18:19], v[245:246], v[18:19]
	;; [unrolled: 1-line block ×3, first 2 shown]
	v_mul_f64 v[176:177], v[205:206], s[50:51]
	v_fma_f64 v[205:206], v[194:195], s[18:19], v[14:15]
	v_mul_f64 v[192:193], v[192:193], s[22:23]
	v_mul_f64 v[228:229], v[239:240], s[22:23]
	v_fma_f64 v[186:187], v[241:242], s[22:23], -v[186:187]
	v_add_f64 v[182:183], v[182:183], v[144:145]
	v_add_f64 v[18:19], v[197:198], v[18:19]
	v_fma_f64 v[144:145], v[201:202], s[50:51], v[207:208]
	v_add_f64 v[8:9], v[136:137], v[8:9]
	v_fma_f64 v[10:11], v[249:250], s[34:35], -v[10:11]
	v_fma_f64 v[4:5], v[199:200], s[22:23], -v[4:5]
	v_mul_f64 v[234:235], v[194:195], s[34:35]
	v_mul_f64 v[172:173], v[199:200], s[36:37]
	v_fma_f64 v[201:202], v[199:200], s[14:15], v[176:177]
	v_add_f64 v[18:19], v[205:206], v[18:19]
	v_mul_f64 v[136:137], v[211:212], s[52:53]
	v_add_f64 v[8:9], v[144:145], v[8:9]
	v_fma_f64 v[14:15], v[194:195], s[18:19], -v[14:15]
	v_add_f64 v[0:1], v[4:5], v[0:1]
	v_mul_f64 v[4:5], v[253:254], s[18:19]
	v_mul_f64 v[20:21], v[138:139], s[40:41]
	v_add_f64 v[18:19], v[201:202], v[18:19]
	s_waitcnt vmcnt(0)
	v_add_f64 v[16:17], v[16:17], v[25:26]
	buffer_load_dword v25, off, s[64:67], 0 offset:304 ; 4-byte Folded Reload
	buffer_load_dword v26, off, s[64:67], 0 offset:308 ; 4-byte Folded Reload
	s_waitcnt vmcnt(0)
	v_add_f64 v[232:233], v[232:233], v[25:26]
	buffer_load_dword v25, off, s[64:67], 0 offset:488 ; 4-byte Folded Reload
	buffer_load_dword v26, off, s[64:67], 0 offset:492 ; 4-byte Folded Reload
	;; [unrolled: 4-line block ×6, first 2 shown]
	buffer_load_dword v27, off, s[64:67], 0 offset:448 ; 4-byte Folded Reload
	buffer_load_dword v28, off, s[64:67], 0 offset:452 ; 4-byte Folded Reload
	v_fma_f64 v[203:204], v[237:238], s[16:17], -v[224:225]
	v_add_f64 v[197:198], v[197:198], v[30:31]
	s_waitcnt vmcnt(0)
	v_add_f64 v[190:191], v[27:28], v[25:26]
	buffer_load_dword v25, off, s[64:67], 0 offset:456 ; 4-byte Folded Reload
	buffer_load_dword v26, off, s[64:67], 0 offset:460 ; 4-byte Folded Reload
	v_add_f64 v[134:135], v[134:135], v[190:191]
	s_waitcnt vmcnt(0)
	v_add_f64 v[16:17], v[16:17], v[25:26]
	buffer_load_dword v25, off, s[64:67], 0 offset:264 ; 4-byte Folded Reload
	buffer_load_dword v26, off, s[64:67], 0 offset:268 ; 4-byte Folded Reload
	;; [unrolled: 1-line block ×4, first 2 shown]
	s_waitcnt vmcnt(0)
	v_add_f64 v[144:145], v[25:26], -v[27:28]
	buffer_load_dword v25, off, s[64:67], 0 offset:440 ; 4-byte Folded Reload
	buffer_load_dword v26, off, s[64:67], 0 offset:444 ; 4-byte Folded Reload
	v_add_f64 v[144:145], v[132:133], v[144:145]
	v_add_f64 v[132:133], v[132:133], v[203:204]
	;; [unrolled: 1-line block ×3, first 2 shown]
	v_fma_f64 v[186:187], v[239:240], s[40:41], -v[243:244]
	v_add_f64 v[10:11], v[10:11], v[132:133]
	v_fma_f64 v[132:133], v[253:254], s[36:37], -v[178:179]
	v_add_f64 v[10:11], v[186:187], v[10:11]
	v_add_f64 v[10:11], v[132:133], v[10:11]
	v_fma_f64 v[132:133], v[199:200], s[14:15], -v[176:177]
	v_add_f64 v[10:11], v[14:15], v[10:11]
	v_fma_f64 v[14:15], v[138:139], s[2:3], -v[136:137]
	v_add_f64 v[10:11], v[132:133], v[10:11]
	v_add_f64 v[132:133], v[14:15], v[10:11]
	s_waitcnt vmcnt(0)
	v_add_f64 v[205:206], v[25:26], v[226:227]
	buffer_load_dword v25, off, s[64:67], 0 offset:328 ; 4-byte Folded Reload
	buffer_load_dword v26, off, s[64:67], 0 offset:332 ; 4-byte Folded Reload
	v_add_f64 v[134:135], v[205:206], v[134:135]
	s_waitcnt vmcnt(0)
	v_add_f64 v[16:17], v[16:17], v[25:26]
	buffer_load_dword v25, off, s[64:67], 0 offset:320 ; 4-byte Folded Reload
	buffer_load_dword v26, off, s[64:67], 0 offset:324 ; 4-byte Folded Reload
	s_waitcnt vmcnt(0)
	v_add_f64 v[190:191], v[197:198], v[25:26]
	buffer_load_dword v25, off, s[64:67], 0 offset:416 ; 4-byte Folded Reload
	buffer_load_dword v26, off, s[64:67], 0 offset:420 ; 4-byte Folded Reload
	s_waitcnt vmcnt(0)
	v_add_f64 v[197:198], v[220:221], -v[25:26]
	buffer_load_dword v25, off, s[64:67], 0 offset:424 ; 4-byte Folded Reload
	buffer_load_dword v26, off, s[64:67], 0 offset:428 ; 4-byte Folded Reload
	v_add_f64 v[144:145], v[197:198], v[144:145]
	s_waitcnt vmcnt(0)
	v_add_f64 v[188:189], v[25:26], v[188:189]
	buffer_load_dword v25, off, s[64:67], 0 offset:296 ; 4-byte Folded Reload
	buffer_load_dword v26, off, s[64:67], 0 offset:300 ; 4-byte Folded Reload
	v_add_f64 v[134:135], v[188:189], v[134:135]
	s_waitcnt vmcnt(0)
	v_add_f64 v[16:17], v[16:17], v[25:26]
	buffer_load_dword v25, off, s[64:67], 0 offset:280 ; 4-byte Folded Reload
	buffer_load_dword v26, off, s[64:67], 0 offset:284 ; 4-byte Folded Reload
	s_waitcnt vmcnt(0)
	v_add_f64 v[190:191], v[190:191], v[25:26]
	buffer_load_dword v25, off, s[64:67], 0 offset:408 ; 4-byte Folded Reload
	buffer_load_dword v26, off, s[64:67], 0 offset:412 ; 4-byte Folded Reload
	s_waitcnt vmcnt(0)
	v_add_f64 v[203:204], v[230:231], -v[25:26]
	buffer_load_dword v25, off, s[64:67], 0 offset:136 ; 4-byte Folded Reload
	buffer_load_dword v26, off, s[64:67], 0 offset:140 ; 4-byte Folded Reload
	;; [unrolled: 18-line block ×5, first 2 shown]
	v_add_f64 v[4:5], v[186:187], v[4:5]
	v_fma_f64 v[186:187], v[138:139], s[2:3], v[136:137]
	s_waitcnt vmcnt(0)
	v_add_f64 v[144:145], v[25:26], v[222:223]
	buffer_load_dword v25, off, s[64:67], 0 offset:344 ; 4-byte Folded Reload
	buffer_load_dword v26, off, s[64:67], 0 offset:348 ; 4-byte Folded Reload
	v_add_f64 v[12:13], v[144:145], v[12:13]
	s_waitcnt vmcnt(0)
	v_add_f64 v[16:17], v[16:17], v[25:26]
	buffer_load_dword v25, off, s[64:67], 0 offset:368 ; 4-byte Folded Reload
	buffer_load_dword v26, off, s[64:67], 0 offset:372 ; 4-byte Folded Reload
	s_waitcnt vmcnt(0)
	v_add_f64 v[134:135], v[178:179], v[25:26]
	buffer_load_dword v25, off, s[64:67], 0 offset:176 ; 4-byte Folded Reload
	buffer_load_dword v26, off, s[64:67], 0 offset:180 ; 4-byte Folded Reload
	v_add_f64 v[178:179], v[213:214], v[6:7]
	s_waitcnt vmcnt(0)
	v_add_f64 v[172:173], v[172:173], -v[25:26]
	buffer_load_dword v25, off, s[64:67], 0 offset:200 ; 4-byte Folded Reload
	buffer_load_dword v26, off, s[64:67], 0 offset:204 ; 4-byte Folded Reload
	v_add_f64 v[4:5], v[172:173], v[4:5]
	v_add_f64 v[172:173], v[2:3], v[0:1]
	v_lshl_add_u32 v0, v24, 4, v29
	s_waitcnt vmcnt(0)
	v_add_f64 v[176:177], v[25:26], v[184:185]
	buffer_load_dword v25, off, s[64:67], 0 offset:288 ; 4-byte Folded Reload
	buffer_load_dword v26, off, s[64:67], 0 offset:292 ; 4-byte Folded Reload
	v_add_f64 v[184:185], v[22:23], v[182:183]
	v_add_f64 v[182:183], v[186:187], v[18:19]
	s_waitcnt vmcnt(0)
	v_add_f64 v[16:17], v[16:17], v[25:26]
	buffer_load_dword v25, off, s[64:67], 0 offset:224 ; 4-byte Folded Reload
	buffer_load_dword v26, off, s[64:67], 0 offset:228 ; 4-byte Folded Reload
	s_waitcnt vmcnt(0)
	v_add_f64 v[144:145], v[134:135], v[25:26]
	buffer_load_dword v25, off, s[64:67], 0 offset:192 ; 4-byte Folded Reload
	buffer_load_dword v26, off, s[64:67], 0 offset:196 ; 4-byte Folded Reload
	v_add_f64 v[134:135], v[146:147], v[8:9]
	buffer_load_dword v8, off, s[64:67], 0 offset:336 ; 4-byte Folded Reload
	buffer_load_dword v9, off, s[64:67], 0 offset:340 ; 4-byte Folded Reload
	v_add_f64 v[146:147], v[176:177], v[12:13]
	s_waitcnt vmcnt(2)
	v_add_f64 v[20:21], v[20:21], -v[25:26]
	s_waitcnt vmcnt(0)
	v_add_f64 v[138:139], v[16:17], v[8:9]
	buffer_load_dword v8, off, s[64:67], 0 offset:216 ; 4-byte Folded Reload
	buffer_load_dword v9, off, s[64:67], 0 offset:220 ; 4-byte Folded Reload
	s_waitcnt vmcnt(0)
	v_add_f64 v[136:137], v[144:145], v[8:9]
	v_add_f64 v[144:145], v[20:21], v[4:5]
	ds_write_b128 v217, v[136:139]
	ds_write_b128 v0, v[144:147] offset:256
	ds_write_b128 v0, v[132:135] offset:512
	;; [unrolled: 1-line block ×7, first 2 shown]
	buffer_load_dword v1, off, s[64:67], 0 offset:392 ; 4-byte Folded Reload
	buffer_load_dword v2, off, s[64:67], 0 offset:396 ; 4-byte Folded Reload
	buffer_load_dword v3, off, s[64:67], 0 offset:400 ; 4-byte Folded Reload
	buffer_load_dword v4, off, s[64:67], 0 offset:404 ; 4-byte Folded Reload
	s_waitcnt vmcnt(0)
	ds_write_b128 v0, v[1:4] offset:2048
	buffer_load_dword v1, off, s[64:67], 0 offset:376 ; 4-byte Folded Reload
	buffer_load_dword v2, off, s[64:67], 0 offset:380 ; 4-byte Folded Reload
	buffer_load_dword v3, off, s[64:67], 0 offset:384 ; 4-byte Folded Reload
	buffer_load_dword v4, off, s[64:67], 0 offset:388 ; 4-byte Folded Reload
	s_waitcnt vmcnt(0)
	ds_write_b128 v0, v[1:4] offset:2304
	buffer_load_dword v1, off, s[64:67], 0 offset:496 ; 4-byte Folded Reload
	buffer_load_dword v2, off, s[64:67], 0 offset:500 ; 4-byte Folded Reload
	buffer_load_dword v3, off, s[64:67], 0 offset:504 ; 4-byte Folded Reload
	buffer_load_dword v4, off, s[64:67], 0 offset:508 ; 4-byte Folded Reload
	s_waitcnt vmcnt(0)
	ds_write_b128 v0, v[1:4] offset:2560
	ds_write_b128 v0, v[148:151] offset:2816
	ds_write_b128 v0, v[156:159] offset:3072
	;; [unrolled: 1-line block ×6, first 2 shown]
.LBB0_5:
	s_or_b64 exec, exec, s[30:31]
	v_add_co_u32_e32 v0, vcc, s8, v216
	v_mov_b32_e32 v1, s9
	v_addc_co_u32_e32 v1, vcc, 0, v1, vcc
	s_movk_i32 s2, 0x1100
	v_add_co_u32_e32 v132, vcc, s2, v0
	v_addc_co_u32_e32 v133, vcc, 0, v1, vcc
	s_movk_i32 s2, 0x1000
	v_add_co_u32_e32 v0, vcc, s2, v0
	v_addc_co_u32_e32 v1, vcc, 0, v1, vcc
	s_waitcnt vmcnt(0) lgkmcnt(0)
	s_barrier
	global_load_dwordx4 v[138:141], v[0:1], off offset:256
	ds_read_b128 v[134:137], v255
	s_mov_b32 s2, 0x667f3bcd
	s_mov_b32 s3, 0xbfe6a09e
	;; [unrolled: 1-line block ×12, first 2 shown]
	s_waitcnt vmcnt(0) lgkmcnt(0)
	v_mul_f64 v[0:1], v[136:137], v[140:141]
	v_fma_f64 v[142:143], v[134:135], v[138:139], -v[0:1]
	v_mul_f64 v[0:1], v[134:135], v[140:141]
	v_fma_f64 v[144:145], v[136:137], v[138:139], v[0:1]
	global_load_dwordx4 v[138:141], v[132:133], off offset:272
	ds_read_b128 v[134:137], v255 offset:272
	ds_write_b128 v255, v[142:145]
	s_waitcnt vmcnt(0) lgkmcnt(1)
	v_mul_f64 v[0:1], v[136:137], v[140:141]
	v_fma_f64 v[142:143], v[134:135], v[138:139], -v[0:1]
	v_mul_f64 v[0:1], v[134:135], v[140:141]
	v_fma_f64 v[144:145], v[136:137], v[138:139], v[0:1]
	global_load_dwordx4 v[138:141], v[132:133], off offset:544
	ds_read_b128 v[134:137], v255 offset:544
	ds_write_b128 v255, v[142:145] offset:272
	s_waitcnt vmcnt(0) lgkmcnt(1)
	v_mul_f64 v[0:1], v[136:137], v[140:141]
	v_fma_f64 v[142:143], v[134:135], v[138:139], -v[0:1]
	v_mul_f64 v[0:1], v[134:135], v[140:141]
	v_fma_f64 v[144:145], v[136:137], v[138:139], v[0:1]
	global_load_dwordx4 v[138:141], v[132:133], off offset:816
	ds_read_b128 v[134:137], v255 offset:816
	ds_write_b128 v255, v[142:145] offset:544
	;; [unrolled: 8-line block ×14, first 2 shown]
	s_waitcnt vmcnt(0) lgkmcnt(1)
	v_mul_f64 v[0:1], v[136:137], v[140:141]
	v_fma_f64 v[132:133], v[134:135], v[138:139], -v[0:1]
	v_mul_f64 v[0:1], v[134:135], v[140:141]
	v_fma_f64 v[134:135], v[136:137], v[138:139], v[0:1]
	ds_write_b128 v255, v[132:135] offset:4080
	s_waitcnt lgkmcnt(0)
	s_barrier
	ds_read_b128 v[132:135], v255
	ds_read_b128 v[136:139], v255 offset:272
	ds_read_b128 v[140:143], v255 offset:544
	;; [unrolled: 1-line block ×15, first 2 shown]
	s_waitcnt lgkmcnt(7)
	v_add_f64 v[0:1], v[132:133], -v[164:165]
	v_add_f64 v[2:3], v[134:135], -v[166:167]
	s_waitcnt lgkmcnt(3)
	v_add_f64 v[8:9], v[148:149], -v[180:181]
	v_add_f64 v[10:11], v[150:151], -v[182:183]
	;; [unrolled: 1-line block ×6, first 2 shown]
	v_fma_f64 v[4:5], v[132:133], 2.0, -v[0:1]
	v_fma_f64 v[6:7], v[134:135], 2.0, -v[2:3]
	s_waitcnt lgkmcnt(1)
	v_add_f64 v[132:133], v[156:157], -v[188:189]
	v_add_f64 v[134:135], v[158:159], -v[190:191]
	v_fma_f64 v[12:13], v[148:149], 2.0, -v[8:9]
	v_fma_f64 v[14:15], v[150:151], 2.0, -v[10:11]
	;; [unrolled: 1-line block ×4, first 2 shown]
	v_add_f64 v[148:149], v[136:137], -v[168:169]
	v_add_f64 v[150:151], v[138:139], -v[170:171]
	v_fma_f64 v[140:141], v[156:157], 2.0, -v[132:133]
	v_fma_f64 v[142:143], v[158:159], 2.0, -v[134:135]
	v_add_f64 v[156:157], v[152:153], -v[184:185]
	v_add_f64 v[158:159], v[154:155], -v[186:187]
	s_waitcnt lgkmcnt(0)
	v_add_f64 v[168:169], v[160:161], -v[192:193]
	v_add_f64 v[170:171], v[162:163], -v[194:195]
	v_fma_f64 v[136:137], v[136:137], 2.0, -v[148:149]
	v_fma_f64 v[138:139], v[138:139], 2.0, -v[150:151]
	;; [unrolled: 1-line block ×8, first 2 shown]
	v_add_f64 v[12:13], v[4:5], -v[12:13]
	v_add_f64 v[14:15], v[6:7], -v[14:15]
	v_add_f64 v[10:11], v[0:1], v[10:11]
	v_add_f64 v[8:9], v[2:3], -v[8:9]
	v_add_f64 v[152:153], v[136:137], -v[152:153]
	;; [unrolled: 1-line block ×7, first 2 shown]
	v_add_f64 v[134:135], v[16:17], v[134:135]
	v_add_f64 v[132:133], v[18:19], -v[132:133]
	v_fma_f64 v[136:137], v[136:137], 2.0, -v[152:153]
	v_fma_f64 v[138:139], v[138:139], 2.0, -v[154:155]
	v_add_f64 v[158:159], v[148:149], v[158:159]
	v_add_f64 v[156:157], v[150:151], -v[156:157]
	v_fma_f64 v[144:145], v[144:145], 2.0, -v[160:161]
	v_fma_f64 v[146:147], v[146:147], 2.0, -v[162:163]
	;; [unrolled: 4-line block ×3, first 2 shown]
	v_fma_f64 v[0:1], v[0:1], 2.0, -v[10:11]
	v_fma_f64 v[2:3], v[2:3], 2.0, -v[8:9]
	;; [unrolled: 1-line block ×10, first 2 shown]
	v_add_f64 v[184:185], v[12:13], v[142:143]
	v_add_f64 v[186:187], v[14:15], -v[140:141]
	v_fma_f64 v[140:141], v[134:135], s[8:9], v[10:11]
	v_fma_f64 v[142:143], v[132:133], s[8:9], v[8:9]
	v_add_f64 v[182:183], v[136:137], -v[144:145]
	v_add_f64 v[180:181], v[138:139], -v[146:147]
	;; [unrolled: 1-line block ×4, first 2 shown]
	v_fma_f64 v[172:173], v[16:17], s[2:3], v[0:1]
	v_fma_f64 v[174:175], v[18:19], s[2:3], v[2:3]
	;; [unrolled: 1-line block ×4, first 2 shown]
	v_fma_f64 v[132:133], v[136:137], 2.0, -v[182:183]
	v_fma_f64 v[134:135], v[138:139], 2.0, -v[180:181]
	v_fma_f64 v[136:137], v[164:165], s[2:3], v[148:149]
	v_fma_f64 v[138:139], v[166:167], s[2:3], v[150:151]
	;; [unrolled: 1-line block ×4, first 2 shown]
	v_fma_f64 v[4:5], v[4:5], 2.0, -v[20:21]
	v_fma_f64 v[6:7], v[6:7], 2.0, -v[22:23]
	v_fma_f64 v[18:19], v[18:19], s[8:9], v[172:173]
	v_fma_f64 v[16:17], v[16:17], s[2:3], v[174:175]
	;; [unrolled: 1-line block ×6, first 2 shown]
	v_add_f64 v[188:189], v[152:153], v[162:163]
	v_add_f64 v[190:191], v[154:155], -v[160:161]
	v_fma_f64 v[0:1], v[0:1], 2.0, -v[18:19]
	v_fma_f64 v[2:3], v[2:3], 2.0, -v[16:17]
	;; [unrolled: 1-line block ×6, first 2 shown]
	v_add_f64 v[156:157], v[4:5], -v[132:133]
	v_add_f64 v[158:159], v[6:7], -v[134:135]
	v_fma_f64 v[12:13], v[12:13], 2.0, -v[184:185]
	v_fma_f64 v[14:15], v[14:15], 2.0, -v[186:187]
	;; [unrolled: 1-line block ×8, first 2 shown]
	v_fma_f64 v[4:5], v[136:137], s[16:17], v[0:1]
	v_fma_f64 v[6:7], v[138:139], s[16:17], v[2:3]
	v_add_f64 v[180:181], v[20:21], v[180:181]
	v_add_f64 v[182:183], v[22:23], -v[182:183]
	s_barrier
	v_fma_f64 v[172:173], v[138:139], s[14:15], v[4:5]
	v_fma_f64 v[174:175], v[136:137], s[10:11], v[6:7]
	v_fma_f64 v[148:149], v[20:21], 2.0, -v[180:181]
	v_fma_f64 v[150:151], v[22:23], 2.0, -v[182:183]
	;; [unrolled: 1-line block ×4, first 2 shown]
	v_fma_f64 v[0:1], v[140:141], s[2:3], v[12:13]
	v_fma_f64 v[2:3], v[142:143], s[2:3], v[14:15]
	;; [unrolled: 1-line block ×6, first 2 shown]
	v_fma_f64 v[140:141], v[12:13], 2.0, -v[160:161]
	v_fma_f64 v[142:143], v[14:15], 2.0, -v[162:163]
	v_fma_f64 v[176:177], v[146:147], s[18:19], v[0:1]
	v_fma_f64 v[178:179], v[144:145], s[16:17], v[2:3]
	v_fma_f64 v[0:1], v[166:167], s[14:15], v[18:19]
	v_fma_f64 v[2:3], v[164:165], s[14:15], v[16:17]
	v_fma_f64 v[144:145], v[10:11], 2.0, -v[176:177]
	v_fma_f64 v[146:147], v[8:9], 2.0, -v[178:179]
	v_fma_f64 v[164:165], v[164:165], s[18:19], v[0:1]
	v_fma_f64 v[166:167], v[166:167], s[16:17], v[2:3]
	v_fma_f64 v[0:1], v[188:189], s[8:9], v[184:185]
	v_fma_f64 v[2:3], v[190:191], s[8:9], v[186:187]
	;; [unrolled: 6-line block ×3, first 2 shown]
	v_fma_f64 v[184:185], v[184:185], 2.0, -v[168:169]
	v_fma_f64 v[186:187], v[186:187], 2.0, -v[170:171]
	v_fma_f64 v[188:189], v[199:200], s[14:15], v[0:1]
	v_fma_f64 v[190:191], v[197:198], s[10:11], v[2:3]
	v_fma_f64 v[192:193], v[192:193], 2.0, -v[188:189]
	v_fma_f64 v[194:195], v[194:195], 2.0, -v[190:191]
	ds_write_b128 v215, v[132:135]
	ds_write_b128 v215, v[136:139] offset:16
	ds_write_b128 v215, v[140:143] offset:32
	ds_write_b128 v215, v[144:147] offset:48
	ds_write_b128 v215, v[148:151] offset:64
	ds_write_b128 v215, v[152:155] offset:80
	ds_write_b128 v215, v[184:187] offset:96
	ds_write_b128 v215, v[192:195] offset:112
	ds_write_b128 v215, v[156:159] offset:128
	ds_write_b128 v215, v[172:175] offset:144
	ds_write_b128 v215, v[160:163] offset:160
	ds_write_b128 v215, v[176:179] offset:176
	ds_write_b128 v215, v[180:183] offset:192
	ds_write_b128 v215, v[164:167] offset:208
	ds_write_b128 v215, v[168:171] offset:224
	ds_write_b128 v215, v[188:191] offset:240
	s_waitcnt lgkmcnt(0)
	s_barrier
	s_and_saveexec_b64 s[2:3], s[0:1]
	s_cbranch_execz .LBB0_7
; %bb.6:
	ds_read_b128 v[132:135], v255
	ds_read_b128 v[136:139], v255 offset:256
	ds_read_b128 v[140:143], v255 offset:512
	;; [unrolled: 1-line block ×16, first 2 shown]
.LBB0_7:
	s_or_b64 exec, exec, s[2:3]
	s_and_saveexec_b64 s[2:3], s[0:1]
	s_cbranch_execz .LBB0_9
; %bb.8:
	s_waitcnt lgkmcnt(8)
	v_mul_f64 v[0:1], v[98:99], v[158:159]
	s_waitcnt lgkmcnt(7)
	v_mul_f64 v[2:3], v[126:127], v[174:175]
	v_mul_f64 v[4:5], v[86:87], v[194:195]
	s_waitcnt lgkmcnt(6)
	v_mul_f64 v[6:7], v[118:119], v[162:163]
	v_mul_f64 v[8:9], v[98:99], v[156:157]
	;; [unrolled: 1-line block ×3, first 2 shown]
	s_mov_b32 s16, 0xacd6c6b4
	s_mov_b32 s17, 0xbfc7851a
	v_fma_f64 v[12:13], v[96:97], v[156:157], v[0:1]
	v_fma_f64 v[0:1], v[124:125], v[172:173], v[2:3]
	;; [unrolled: 1-line block ×4, first 2 shown]
	v_fma_f64 v[8:9], v[96:97], v[158:159], -v[8:9]
	v_fma_f64 v[6:7], v[124:125], v[174:175], -v[10:11]
	s_waitcnt lgkmcnt(5)
	v_mul_f64 v[2:3], v[114:115], v[178:179]
	v_mul_f64 v[10:11], v[90:91], v[154:155]
	v_mov_b32_e32 v28, v13
	v_mov_b32_e32 v26, v1
	v_add_f64 v[174:175], v[12:13], -v[0:1]
	v_mov_b32_e32 v25, v0
	v_mul_f64 v[0:1], v[82:83], v[186:187]
	v_mov_b32_e32 v31, v5
	v_mov_b32_e32 v97, v9
	v_add_f64 v[201:202], v[126:127], -v[4:5]
	v_mov_b32_e32 v30, v4
	v_mul_f64 v[4:5], v[86:87], v[192:193]
	v_add_f64 v[124:125], v[6:7], v[8:9]
	v_mov_b32_e32 v96, v8
	v_mul_f64 v[8:9], v[118:119], v[160:161]
	v_mov_b32_e32 v27, v12
	v_fma_f64 v[12:13], v[80:81], v[184:185], v[0:1]
	v_fma_f64 v[199:200], v[112:113], v[176:177], v[2:3]
	v_mul_f64 v[2:3], v[82:83], v[184:185]
	v_fma_f64 v[160:161], v[84:85], v[194:195], -v[4:5]
	s_waitcnt lgkmcnt(4)
	v_mul_f64 v[4:5], v[94:95], v[182:183]
	v_mov_b32_e32 v87, v7
	v_fma_f64 v[116:117], v[116:117], v[162:163], -v[8:9]
	v_mul_f64 v[8:9], v[114:115], v[176:177]
	v_mov_b32_e32 v83, v13
	v_add_f64 v[162:163], v[12:13], -v[199:200]
	v_mov_b32_e32 v82, v12
	v_mul_f64 v[12:13], v[78:79], v[150:151]
	v_fma_f64 v[176:177], v[80:81], v[186:187], -v[2:3]
	v_fma_f64 v[186:187], v[88:89], v[152:153], v[10:11]
	s_waitcnt lgkmcnt(3)
	v_mul_f64 v[2:3], v[122:123], v[166:167]
	v_fma_f64 v[197:198], v[92:93], v[180:181], v[4:5]
	v_mul_f64 v[4:5], v[90:91], v[152:153]
	v_fma_f64 v[112:113], v[112:113], v[178:179], -v[8:9]
	v_mul_f64 v[8:9], v[94:95], v[180:181]
	v_mul_f64 v[10:11], v[70:71], v[146:147]
	v_fma_f64 v[178:179], v[76:77], v[148:149], v[12:13]
	s_waitcnt lgkmcnt(2)
	v_mul_f64 v[12:13], v[102:103], v[170:171]
	v_fma_f64 v[184:185], v[120:121], v[164:165], v[2:3]
	v_mul_f64 v[2:3], v[78:79], v[148:149]
	v_fma_f64 v[154:155], v[88:89], v[154:155], -v[4:5]
	v_mul_f64 v[4:5], v[122:123], v[164:165]
	v_fma_f64 v[122:123], v[92:93], v[182:183], -v[8:9]
	v_fma_f64 v[164:165], v[68:69], v[144:145], v[10:11]
	v_mul_f64 v[8:9], v[74:75], v[138:139]
	s_waitcnt lgkmcnt(0)
	v_mul_f64 v[10:11], v[110:111], v[130:131]
	v_fma_f64 v[172:173], v[100:101], v[168:169], v[12:13]
	v_fma_f64 v[192:193], v[76:77], v[150:151], -v[2:3]
	v_mul_f64 v[2:3], v[66:67], v[142:143]
	v_fma_f64 v[114:115], v[120:121], v[166:167], -v[4:5]
	v_mul_f64 v[4:5], v[106:107], v[190:191]
	v_mul_f64 v[12:13], v[70:71], v[144:145]
	v_fma_f64 v[144:145], v[72:73], v[136:137], v[8:9]
	v_fma_f64 v[152:153], v[108:109], v[128:129], v[10:11]
	v_mul_f64 v[8:9], v[74:75], v[136:137]
	v_mul_f64 v[10:11], v[110:111], v[128:129]
	v_fma_f64 v[194:195], v[64:65], v[140:141], v[2:3]
	v_mul_f64 v[2:3], v[66:67], v[140:141]
	v_fma_f64 v[110:111], v[104:105], v[188:189], v[4:5]
	v_mul_f64 v[4:5], v[106:107], v[188:189]
	v_mov_b32_e32 v86, v6
	v_add_f64 v[231:232], v[144:145], -v[152:153]
	v_fma_f64 v[188:189], v[72:73], v[138:139], -v[8:9]
	v_fma_f64 v[106:107], v[108:109], v[130:131], -v[10:11]
	v_mul_f64 v[8:9], v[102:103], v[168:169]
	v_fma_f64 v[142:143], v[64:65], v[142:143], -v[2:3]
	v_add_f64 v[229:230], v[194:195], -v[110:111]
	v_fma_f64 v[102:103], v[104:105], v[190:191], -v[4:5]
	buffer_store_dword v27, off, s[64:67], 0 offset:160 ; 4-byte Folded Spill
	s_nop 0
	buffer_store_dword v28, off, s[64:67], 0 offset:164 ; 4-byte Folded Spill
	v_mul_f64 v[2:3], v[231:232], s[16:17]
	buffer_store_dword v25, off, s[64:67], 0 offset:152 ; 4-byte Folded Spill
	s_nop 0
	buffer_store_dword v26, off, s[64:67], 0 offset:156 ; 4-byte Folded Spill
	v_add_f64 v[138:139], v[106:107], v[188:189]
	buffer_store_dword v30, off, s[64:67], 0 offset:144 ; 4-byte Folded Spill
	s_nop 0
	buffer_store_dword v31, off, s[64:67], 0 offset:148 ; 4-byte Folded Spill
	buffer_store_dword v96, off, s[64:67], 0 offset:136 ; 4-byte Folded Spill
	s_nop 0
	buffer_store_dword v97, off, s[64:67], 0 offset:140 ; 4-byte Folded Spill
	;; [unrolled: 3-line block ×4, first 2 shown]
	s_mov_b32 s36, 0x5d8e7cdc
	s_mov_b32 s10, 0x7faef3
	s_mov_b32 s37, 0x3fd71e95
	s_mov_b32 s11, 0xbfef7484
	v_add_f64 v[166:167], v[164:165], -v[172:173]
	v_fma_f64 v[146:147], v[68:69], v[146:147], -v[12:13]
	v_fma_f64 v[100:101], v[100:101], v[170:171], -v[8:9]
	v_mul_f64 v[4:5], v[229:230], s[36:37]
	v_add_f64 v[130:131], v[102:103], v[142:143]
	v_fma_f64 v[8:9], v[138:139], s[10:11], v[2:3]
	s_mov_b32 s22, 0x4363dd80
	s_mov_b32 s18, 0x370991
	;; [unrolled: 1-line block ×4, first 2 shown]
	v_add_f64 v[182:183], v[178:179], -v[184:185]
	v_mul_f64 v[10:11], v[166:167], s[22:23]
	v_add_f64 v[136:137], v[100:101], v[146:147]
	v_fma_f64 v[12:13], v[130:131], s[18:19], v[4:5]
	v_add_f64 v[8:9], v[134:135], v[8:9]
	s_mov_b32 s44, 0x2a9d6da3
	s_mov_b32 s14, 0x910ea3b9
	;; [unrolled: 1-line block ×4, first 2 shown]
	v_add_f64 v[180:181], v[186:187], -v[197:198]
	v_mul_f64 v[14:15], v[182:183], s[44:45]
	v_add_f64 v[128:129], v[114:115], v[192:193]
	v_fma_f64 v[16:17], v[136:137], s[14:15], v[10:11]
	v_add_f64 v[8:9], v[12:13], v[8:9]
	s_mov_b32 s26, 0x6c9a05f6
	s_mov_b32 s20, 0x75d4884
	;; [unrolled: 1-line block ×4, first 2 shown]
	v_mul_f64 v[12:13], v[180:181], s[26:27]
	v_add_f64 v[108:109], v[122:123], v[154:155]
	v_fma_f64 v[18:19], v[128:129], s[20:21], v[14:15]
	v_add_f64 v[8:9], v[16:17], v[8:9]
	v_add_f64 v[205:206], v[188:189], -v[106:107]
	s_mov_b32 s40, 0x7c9e640b
	s_mov_b32 s24, 0x6ed5f1bb
	;; [unrolled: 1-line block ×4, first 2 shown]
	v_mul_f64 v[16:17], v[162:163], s[40:41]
	v_add_f64 v[104:105], v[176:177], v[112:113]
	v_fma_f64 v[20:21], v[108:109], s[24:25], v[12:13]
	v_add_f64 v[8:9], v[18:19], v[8:9]
	v_add_f64 v[203:204], v[142:143], -v[102:103]
	v_add_f64 v[190:191], v[152:153], v[144:145]
	v_mul_f64 v[18:19], v[205:206], s[16:17]
	s_mov_b32 s30, 0x2b2883cd
	s_mov_b32 s31, 0x3fdc86fa
	v_fma_f64 v[22:23], v[104:105], s[30:31], v[16:17]
	v_add_f64 v[207:208], v[146:147], -v[100:101]
	v_add_f64 v[8:9], v[20:21], v[8:9]
	v_add_f64 v[170:171], v[110:111], v[194:195]
	v_mul_f64 v[20:21], v[203:204], s[36:37]
	v_fma_f64 v[64:65], v[190:191], s[10:11], -v[18:19]
	v_add_f64 v[211:212], v[192:193], -v[114:115]
	v_add_f64 v[168:169], v[172:173], v[164:165]
	v_fma_f64 v[2:3], v[138:139], s[10:11], -v[2:3]
	v_add_f64 v[213:214], v[154:155], -v[122:123]
	v_add_f64 v[8:9], v[22:23], v[8:9]
	v_mul_f64 v[22:23], v[207:208], s[22:23]
	v_fma_f64 v[68:69], v[170:171], s[18:19], -v[20:21]
	v_add_f64 v[64:65], v[132:133], v[64:65]
	v_add_f64 v[209:210], v[184:185], v[178:179]
	v_mul_f64 v[70:71], v[211:212], s[44:45]
	v_fma_f64 v[4:5], v[130:131], s[18:19], -v[4:5]
	v_add_f64 v[2:3], v[134:135], v[2:3]
	v_add_f64 v[227:228], v[176:177], -v[112:113]
	v_fma_f64 v[72:73], v[168:169], s[14:15], -v[22:23]
	v_fma_f64 v[18:19], v[190:191], s[10:11], v[18:19]
	v_add_f64 v[64:65], v[68:69], v[64:65]
	v_add_f64 v[225:226], v[197:198], v[186:187]
	v_mul_f64 v[68:69], v[213:214], s[26:27]
	v_fma_f64 v[74:75], v[209:210], s[20:21], -v[70:71]
	v_fma_f64 v[10:11], v[136:137], s[14:15], -v[10:11]
	v_add_f64 v[2:3], v[4:5], v[2:3]
	v_add_f64 v[217:218], v[160:161], -v[116:117]
	v_fma_f64 v[20:21], v[170:171], s[18:19], v[20:21]
	v_add_f64 v[64:65], v[72:73], v[64:65]
	v_add_f64 v[18:19], v[132:133], v[18:19]
	v_add_f64 v[223:224], v[82:83], v[199:200]
	v_mul_f64 v[4:5], v[227:228], s[40:41]
	v_fma_f64 v[72:73], v[225:226], s[24:25], -v[68:69]
	v_fma_f64 v[14:15], v[128:129], s[20:21], -v[14:15]
	v_add_f64 v[2:3], v[10:11], v[2:3]
	s_mov_b32 s8, 0x923c349f
	v_add_f64 v[64:65], v[74:75], v[64:65]
	s_mov_b32 s9, 0xbfeec746
	v_fma_f64 v[22:23], v[168:169], s[14:15], v[22:23]
	v_add_f64 v[18:19], v[20:21], v[18:19]
	v_add_f64 v[221:222], v[30:31], v[126:127]
	v_mul_f64 v[10:11], v[217:218], s[8:9]
	v_fma_f64 v[20:21], v[223:224], s[30:31], -v[4:5]
	v_fma_f64 v[12:13], v[108:109], s[24:25], -v[12:13]
	v_add_f64 v[64:65], v[72:73], v[64:65]
	v_add_f64 v[2:3], v[14:15], v[2:3]
	s_mov_b32 s28, 0xc61f0d01
	s_mov_b32 s29, 0xbfd183b1
	v_add_f64 v[18:19], v[22:23], v[18:19]
	v_fma_f64 v[22:23], v[221:222], s[28:29], -v[10:11]
	v_fma_f64 v[16:17], v[104:105], s[30:31], -v[16:17]
	v_fma_f64 v[70:71], v[209:210], s[20:21], v[70:71]
	v_add_f64 v[20:21], v[20:21], v[64:65]
	v_add_f64 v[2:3], v[12:13], v[2:3]
	v_mul_f64 v[0:1], v[201:202], s[8:9]
	v_add_f64 v[140:141], v[116:117], v[160:161]
	v_mul_f64 v[76:77], v[203:204], s[40:41]
	s_mov_b32 s46, 0xeb564b22
	s_mov_b32 s47, 0x3fefdd0d
	v_add_f64 v[18:19], v[70:71], v[18:19]
	v_add_f64 v[20:21], v[22:23], v[20:21]
	;; [unrolled: 1-line block ×3, first 2 shown]
	v_mul_f64 v[16:17], v[231:232], s[22:23]
	v_mul_f64 v[22:23], v[205:206], s[22:23]
	;; [unrolled: 1-line block ×3, first 2 shown]
	s_mov_b32 s39, 0xbfefdd0d
	s_mov_b32 s38, s46
	v_mul_f64 v[6:7], v[174:175], s[46:47]
	v_fma_f64 v[66:67], v[140:141], s[28:29], v[0:1]
	v_add_f64 v[219:220], v[96:97], -v[86:87]
	v_fma_f64 v[72:73], v[138:139], s[14:15], v[16:17]
	v_fma_f64 v[78:79], v[190:191], s[14:15], -v[22:23]
	v_fma_f64 v[16:17], v[138:139], s[14:15], -v[16:17]
	v_fma_f64 v[22:23], v[190:191], s[14:15], v[22:23]
	v_mul_f64 v[80:81], v[166:167], s[38:39]
	v_fma_f64 v[82:83], v[130:131], s[30:31], v[70:71]
	v_mul_f64 v[84:85], v[207:208], s[38:39]
	v_fma_f64 v[86:87], v[170:171], s[30:31], -v[76:77]
	v_add_f64 v[72:73], v[134:135], v[72:73]
	v_add_f64 v[78:79], v[132:133], v[78:79]
	v_fma_f64 v[70:71], v[130:131], s[30:31], -v[70:71]
	v_add_f64 v[16:17], v[134:135], v[16:17]
	v_fma_f64 v[76:77], v[170:171], s[30:31], v[76:77]
	v_add_f64 v[22:23], v[132:133], v[22:23]
	s_mov_b32 s0, 0x3259b75e
	s_mov_b32 s1, 0x3fb79ee6
	s_mov_b32 s53, 0x3fe9895b
	s_mov_b32 s52, s26
	v_add_f64 v[215:216], v[25:26], v[27:28]
	v_mul_f64 v[14:15], v[219:220], s[46:47]
	v_fma_f64 v[12:13], v[124:125], s[0:1], v[6:7]
	v_add_f64 v[8:9], v[66:67], v[8:9]
	v_mul_f64 v[74:75], v[182:183], s[52:53]
	v_fma_f64 v[90:91], v[136:137], s[0:1], v[80:81]
	v_add_f64 v[72:73], v[82:83], v[72:73]
	v_mul_f64 v[82:83], v[211:212], s[52:53]
	v_fma_f64 v[92:93], v[168:169], s[0:1], -v[84:85]
	v_add_f64 v[78:79], v[86:87], v[78:79]
	v_fma_f64 v[80:81], v[136:137], s[0:1], -v[80:81]
	v_add_f64 v[16:17], v[70:71], v[16:17]
	v_fma_f64 v[70:71], v[168:169], s[0:1], v[84:85]
	v_add_f64 v[22:23], v[76:77], v[22:23]
	s_mov_b32 s35, 0xbfd71e95
	s_mov_b32 s34, s36
	v_fma_f64 v[64:65], v[225:226], s[24:25], v[68:69]
	v_fma_f64 v[68:69], v[215:216], s[0:1], -v[14:15]
	v_add_f64 v[158:159], v[12:13], v[8:9]
	v_mul_f64 v[12:13], v[180:181], s[34:35]
	v_fma_f64 v[88:89], v[128:129], s[24:25], v[74:75]
	v_add_f64 v[72:73], v[90:91], v[72:73]
	v_mul_f64 v[86:87], v[213:214], s[34:35]
	v_fma_f64 v[90:91], v[209:210], s[24:25], -v[82:83]
	v_add_f64 v[78:79], v[92:93], v[78:79]
	v_fma_f64 v[74:75], v[128:129], s[24:25], -v[74:75]
	v_add_f64 v[16:17], v[80:81], v[16:17]
	v_fma_f64 v[80:81], v[209:210], s[24:25], v[82:83]
	v_add_f64 v[22:23], v[70:71], v[22:23]
	v_fma_f64 v[0:1], v[140:141], s[28:29], -v[0:1]
	v_fma_f64 v[4:5], v[223:224], s[30:31], v[4:5]
	v_add_f64 v[18:19], v[64:65], v[18:19]
	v_add_f64 v[156:157], v[68:69], v[20:21]
	v_fma_f64 v[8:9], v[221:222], s[28:29], v[10:11]
	v_mul_f64 v[10:11], v[162:163], s[16:17]
	v_fma_f64 v[68:69], v[108:109], s[18:19], v[12:13]
	v_add_f64 v[72:73], v[88:89], v[72:73]
	v_mul_f64 v[76:77], v[227:228], s[16:17]
	v_fma_f64 v[84:85], v[225:226], s[18:19], -v[86:87]
	v_add_f64 v[78:79], v[90:91], v[78:79]
	v_fma_f64 v[12:13], v[108:109], s[18:19], -v[12:13]
	v_add_f64 v[16:17], v[74:75], v[16:17]
	v_fma_f64 v[74:75], v[225:226], s[18:19], v[86:87]
	v_add_f64 v[22:23], v[80:81], v[22:23]
	v_add_f64 v[4:5], v[4:5], v[18:19]
	;; [unrolled: 1-line block ×3, first 2 shown]
	v_mul_f64 v[2:3], v[201:202], s[44:45]
	v_fma_f64 v[20:21], v[104:105], s[10:11], v[10:11]
	v_add_f64 v[68:69], v[68:69], v[72:73]
	v_mul_f64 v[70:71], v[217:218], s[44:45]
	v_fma_f64 v[72:73], v[223:224], s[10:11], -v[76:77]
	v_add_f64 v[78:79], v[84:85], v[78:79]
	v_fma_f64 v[10:11], v[104:105], s[10:11], -v[10:11]
	v_add_f64 v[12:13], v[12:13], v[16:17]
	v_fma_f64 v[16:17], v[223:224], s[10:11], v[76:77]
	v_add_f64 v[22:23], v[74:75], v[22:23]
	v_fma_f64 v[6:7], v[124:125], s[0:1], -v[6:7]
	v_add_f64 v[4:5], v[8:9], v[4:5]
	v_mul_f64 v[8:9], v[174:175], s[8:9]
	v_fma_f64 v[18:19], v[140:141], s[20:21], v[2:3]
	v_add_f64 v[20:21], v[20:21], v[68:69]
	v_mul_f64 v[80:81], v[219:220], s[8:9]
	v_fma_f64 v[68:69], v[221:222], s[20:21], -v[70:71]
	v_add_f64 v[72:73], v[72:73], v[78:79]
	v_add_f64 v[10:11], v[10:11], v[12:13]
	v_fma_f64 v[12:13], v[221:222], s[20:21], v[70:71]
	v_add_f64 v[16:17], v[16:17], v[22:23]
	v_fma_f64 v[76:77], v[124:125], s[28:29], v[8:9]
	v_add_f64 v[18:19], v[18:19], v[20:21]
	v_fma_f64 v[20:21], v[215:216], s[28:29], -v[80:81]
	v_add_f64 v[120:121], v[6:7], v[0:1]
	v_add_f64 v[68:69], v[68:69], v[72:73]
	s_mov_b32 s51, 0x3feec746
	s_mov_b32 s50, s8
	v_add_f64 v[6:7], v[12:13], v[16:17]
	v_mul_f64 v[12:13], v[231:232], s[26:27]
	v_fma_f64 v[14:15], v[215:216], s[0:1], v[14:15]
	v_add_f64 v[150:151], v[76:77], v[18:19]
	v_mul_f64 v[18:19], v[205:206], s[26:27]
	v_add_f64 v[148:149], v[20:21], v[68:69]
	v_mul_f64 v[20:21], v[229:230], s[50:51]
	v_mul_f64 v[86:87], v[166:167], s[34:35]
	;; [unrolled: 1-line block ×3, first 2 shown]
	v_fma_f64 v[76:77], v[138:139], s[24:25], v[12:13]
	v_fma_f64 v[12:13], v[138:139], s[24:25], -v[12:13]
	v_add_f64 v[118:119], v[14:15], v[4:5]
	v_fma_f64 v[4:5], v[215:216], s[28:29], v[80:81]
	v_mul_f64 v[80:81], v[203:204], s[50:51]
	v_fma_f64 v[82:83], v[190:191], s[24:25], -v[18:19]
	v_fma_f64 v[88:89], v[130:131], s[28:29], v[20:21]
	v_fma_f64 v[20:21], v[130:131], s[28:29], -v[20:21]
	v_add_f64 v[76:77], v[134:135], v[76:77]
	v_add_f64 v[12:13], v[134:135], v[12:13]
	v_mul_f64 v[94:95], v[182:183], s[22:23]
	v_fma_f64 v[96:97], v[136:137], s[18:19], v[86:87]
	v_fma_f64 v[92:93], v[170:171], s[28:29], -v[80:81]
	v_add_f64 v[82:83], v[132:133], v[82:83]
	v_fma_f64 v[86:87], v[136:137], s[18:19], -v[86:87]
	v_fma_f64 v[18:19], v[190:191], s[24:25], v[18:19]
	v_mul_f64 v[16:17], v[180:181], s[46:47]
	v_add_f64 v[12:13], v[20:21], v[12:13]
	v_add_f64 v[76:77], v[88:89], v[76:77]
	v_mul_f64 v[88:89], v[211:212], s[22:23]
	v_fma_f64 v[98:99], v[168:169], s[18:19], -v[90:91]
	v_add_f64 v[82:83], v[92:93], v[82:83]
	v_fma_f64 v[92:93], v[128:129], s[14:15], v[94:95]
	v_fma_f64 v[94:95], v[128:129], s[14:15], -v[94:95]
	v_fma_f64 v[80:81], v[170:171], s[28:29], v[80:81]
	v_add_f64 v[18:19], v[132:133], v[18:19]
	v_add_f64 v[12:13], v[86:87], v[12:13]
	s_mov_b32 s43, 0xbfe58eea
	s_mov_b32 s42, s44
	v_fma_f64 v[2:3], v[140:141], s[20:21], -v[2:3]
	v_mul_f64 v[14:15], v[162:163], s[42:43]
	v_fma_f64 v[84:85], v[108:109], s[0:1], v[16:17]
	v_add_f64 v[20:21], v[96:97], v[76:77]
	v_mul_f64 v[76:77], v[213:214], s[46:47]
	v_fma_f64 v[96:97], v[209:210], s[14:15], -v[88:89]
	v_add_f64 v[82:83], v[98:99], v[82:83]
	v_fma_f64 v[16:17], v[108:109], s[0:1], -v[16:17]
	v_fma_f64 v[90:91], v[168:169], s[18:19], v[90:91]
	v_add_f64 v[18:19], v[80:81], v[18:19]
	v_add_f64 v[12:13], v[94:95], v[12:13]
	;; [unrolled: 1-line block ×3, first 2 shown]
	v_mul_f64 v[10:11], v[201:202], s[16:17]
	v_fma_f64 v[78:79], v[104:105], s[20:21], v[14:15]
	v_add_f64 v[20:21], v[92:93], v[20:21]
	v_mul_f64 v[86:87], v[227:228], s[42:43]
	v_fma_f64 v[92:93], v[225:226], s[0:1], -v[76:77]
	v_add_f64 v[82:83], v[96:97], v[82:83]
	v_fma_f64 v[14:15], v[104:105], s[20:21], -v[14:15]
	v_fma_f64 v[88:89], v[209:210], s[14:15], v[88:89]
	v_add_f64 v[18:19], v[90:91], v[18:19]
	v_add_f64 v[12:13], v[16:17], v[12:13]
	v_fma_f64 v[0:1], v[124:125], s[28:29], -v[8:9]
	v_mul_f64 v[8:9], v[174:175], s[40:41]
	v_fma_f64 v[22:23], v[140:141], s[10:11], v[10:11]
	v_add_f64 v[20:21], v[84:85], v[20:21]
	v_mul_f64 v[84:85], v[217:218], s[16:17]
	v_fma_f64 v[80:81], v[223:224], s[20:21], -v[86:87]
	v_add_f64 v[82:83], v[92:93], v[82:83]
	v_fma_f64 v[10:11], v[140:141], s[10:11], -v[10:11]
	v_fma_f64 v[76:77], v[225:226], s[0:1], v[76:77]
	v_add_f64 v[18:19], v[88:89], v[18:19]
	v_add_f64 v[12:13], v[14:15], v[12:13]
	;; [unrolled: 1-line block ×3, first 2 shown]
	v_mul_f64 v[20:21], v[219:220], s[40:41]
	v_fma_f64 v[78:79], v[221:222], s[10:11], -v[84:85]
	v_add_f64 v[80:81], v[80:81], v[82:83]
	v_fma_f64 v[14:15], v[124:125], s[30:31], v[8:9]
	v_fma_f64 v[8:9], v[124:125], s[30:31], -v[8:9]
	v_fma_f64 v[86:87], v[223:224], s[20:21], v[86:87]
	v_add_f64 v[18:19], v[76:77], v[18:19]
	v_add_f64 v[10:11], v[10:11], v[12:13]
	;; [unrolled: 1-line block ×3, first 2 shown]
	v_mul_f64 v[2:3], v[231:232], s[8:9]
	s_mov_b32 s55, 0x3fe0d888
	s_mov_b32 s54, s22
	v_add_f64 v[16:17], v[22:23], v[16:17]
	v_fma_f64 v[22:23], v[215:216], s[30:31], -v[20:21]
	v_add_f64 v[88:89], v[78:79], v[80:81]
	v_add_f64 v[80:81], v[4:5], v[6:7]
	;; [unrolled: 1-line block ×4, first 2 shown]
	v_mul_f64 v[6:7], v[229:230], s[54:55]
	v_mul_f64 v[10:11], v[205:206], s[8:9]
	v_fma_f64 v[12:13], v[138:139], s[28:29], v[2:3]
	v_add_f64 v[78:79], v[14:15], v[16:17]
	v_add_f64 v[76:77], v[22:23], v[88:89]
	v_fma_f64 v[8:9], v[215:216], s[30:31], v[20:21]
	v_mul_f64 v[16:17], v[166:167], s[44:45]
	v_mul_f64 v[20:21], v[203:204], s[54:55]
	v_fma_f64 v[18:19], v[130:131], s[14:15], v[6:7]
	v_fma_f64 v[22:23], v[190:191], s[28:29], -v[10:11]
	v_add_f64 v[12:13], v[134:135], v[12:13]
	s_mov_b32 s49, 0xbfeca52d
	s_mov_b32 s48, s40
	v_fma_f64 v[0:1], v[221:222], s[10:11], v[84:85]
	v_mul_f64 v[84:85], v[182:183], s[48:49]
	v_fma_f64 v[88:89], v[136:137], s[20:21], v[16:17]
	v_mul_f64 v[90:91], v[207:208], s[44:45]
	v_fma_f64 v[92:93], v[170:171], s[14:15], -v[20:21]
	v_add_f64 v[22:23], v[132:133], v[22:23]
	v_add_f64 v[12:13], v[18:19], v[12:13]
	v_fma_f64 v[2:3], v[138:139], s[28:29], -v[2:3]
	v_mul_f64 v[94:95], v[180:181], s[16:17]
	v_fma_f64 v[96:97], v[128:129], s[30:31], v[84:85]
	v_mul_f64 v[98:99], v[211:212], s[48:49]
	v_fma_f64 v[233:234], v[168:169], s[20:21], -v[90:91]
	v_fma_f64 v[6:7], v[130:131], s[14:15], -v[6:7]
	v_add_f64 v[22:23], v[92:93], v[22:23]
	v_add_f64 v[12:13], v[88:89], v[12:13]
	v_add_f64 v[2:3], v[134:135], v[2:3]
	v_mul_f64 v[88:89], v[162:163], s[46:47]
	v_fma_f64 v[92:93], v[108:109], s[10:11], v[94:95]
	v_mul_f64 v[235:236], v[213:214], s[16:17]
	v_fma_f64 v[237:238], v[209:210], s[30:31], -v[98:99]
	v_fma_f64 v[16:17], v[136:137], s[20:21], -v[16:17]
	v_add_f64 v[22:23], v[233:234], v[22:23]
	v_add_f64 v[12:13], v[96:97], v[12:13]
	;; [unrolled: 1-line block ×3, first 2 shown]
	v_mul_f64 v[14:15], v[201:202], s[34:35]
	v_fma_f64 v[96:97], v[104:105], s[0:1], v[88:89]
	v_mul_f64 v[233:234], v[227:228], s[46:47]
	v_fma_f64 v[239:240], v[225:226], s[10:11], -v[235:236]
	v_fma_f64 v[10:11], v[190:191], s[28:29], v[10:11]
	v_add_f64 v[6:7], v[237:238], v[22:23]
	v_add_f64 v[12:13], v[92:93], v[12:13]
	v_fma_f64 v[84:85], v[128:129], s[30:31], -v[84:85]
	v_add_f64 v[2:3], v[16:17], v[2:3]
	v_add_f64 v[0:1], v[0:1], v[4:5]
	v_mul_f64 v[4:5], v[174:175], s[26:27]
	v_fma_f64 v[18:19], v[140:141], s[18:19], v[14:15]
	v_mul_f64 v[22:23], v[217:218], s[34:35]
	v_fma_f64 v[92:93], v[223:224], s[0:1], -v[233:234]
	v_fma_f64 v[20:21], v[170:171], s[14:15], v[20:21]
	v_add_f64 v[10:11], v[132:133], v[10:11]
	v_add_f64 v[6:7], v[239:240], v[6:7]
	;; [unrolled: 1-line block ×3, first 2 shown]
	v_fma_f64 v[94:95], v[108:109], s[10:11], -v[94:95]
	v_add_f64 v[2:3], v[84:85], v[2:3]
	v_mul_f64 v[16:17], v[219:220], s[26:27]
	v_fma_f64 v[96:97], v[221:222], s[18:19], -v[22:23]
	v_fma_f64 v[90:91], v[168:169], s[20:21], v[90:91]
	v_add_f64 v[10:11], v[20:21], v[10:11]
	v_add_f64 v[6:7], v[92:93], v[6:7]
	v_fma_f64 v[20:21], v[124:125], s[24:25], v[4:5]
	v_add_f64 v[12:13], v[18:19], v[12:13]
	v_fma_f64 v[88:89], v[104:105], s[0:1], -v[88:89]
	v_add_f64 v[2:3], v[94:95], v[2:3]
	v_fma_f64 v[18:19], v[215:216], s[24:25], -v[16:17]
	v_fma_f64 v[92:93], v[209:210], s[30:31], v[98:99]
	v_add_f64 v[10:11], v[90:91], v[10:11]
	v_add_f64 v[6:7], v[96:97], v[6:7]
	v_add_f64 v[84:85], v[8:9], v[0:1]
	v_add_f64 v[90:91], v[20:21], v[12:13]
	v_fma_f64 v[0:1], v[140:141], s[18:19], -v[14:15]
	v_mul_f64 v[12:13], v[231:232], s[38:39]
	v_add_f64 v[2:3], v[88:89], v[2:3]
	v_mul_f64 v[14:15], v[205:206], s[38:39]
	v_fma_f64 v[8:9], v[225:226], s[10:11], v[235:236]
	v_add_f64 v[10:11], v[92:93], v[10:11]
	v_add_f64 v[88:89], v[18:19], v[6:7]
	v_mul_f64 v[18:19], v[229:230], s[16:17]
	v_fma_f64 v[6:7], v[223:224], s[0:1], v[233:234]
	v_fma_f64 v[20:21], v[138:139], s[0:1], v[12:13]
	v_add_f64 v[0:1], v[0:1], v[2:3]
	v_fma_f64 v[2:3], v[221:222], s[18:19], v[22:23]
	v_mul_f64 v[22:23], v[203:204], s[16:17]
	v_fma_f64 v[92:93], v[190:191], s[0:1], -v[14:15]
	v_add_f64 v[8:9], v[8:9], v[10:11]
	v_mul_f64 v[10:11], v[166:167], s[50:51]
	v_fma_f64 v[94:95], v[130:131], s[10:11], v[18:19]
	v_add_f64 v[20:21], v[134:135], v[20:21]
	v_mul_f64 v[96:97], v[207:208], s[50:51]
	v_fma_f64 v[12:13], v[138:139], s[0:1], -v[12:13]
	v_fma_f64 v[98:99], v[170:171], s[10:11], -v[22:23]
	v_add_f64 v[92:93], v[132:133], v[92:93]
	v_add_f64 v[6:7], v[6:7], v[8:9]
	v_fma_f64 v[8:9], v[215:216], s[24:25], v[16:17]
	v_mul_f64 v[16:17], v[182:183], s[36:37]
	v_fma_f64 v[233:234], v[136:137], s[28:29], v[10:11]
	v_add_f64 v[20:21], v[94:95], v[20:21]
	v_mul_f64 v[235:236], v[211:212], s[36:37]
	v_fma_f64 v[94:95], v[168:169], s[28:29], -v[96:97]
	v_add_f64 v[92:93], v[98:99], v[92:93]
	v_fma_f64 v[18:19], v[130:131], s[10:11], -v[18:19]
	v_add_f64 v[12:13], v[134:135], v[12:13]
	v_add_f64 v[2:3], v[2:3], v[6:7]
	v_mul_f64 v[6:7], v[180:181], s[48:49]
	v_fma_f64 v[98:99], v[128:129], s[18:19], v[16:17]
	v_add_f64 v[20:21], v[233:234], v[20:21]
	v_mul_f64 v[237:238], v[213:214], s[48:49]
	v_fma_f64 v[239:240], v[209:210], s[18:19], -v[235:236]
	v_add_f64 v[92:93], v[94:95], v[92:93]
	v_fma_f64 v[10:11], v[136:137], s[28:29], -v[10:11]
	v_add_f64 v[12:13], v[18:19], v[12:13]
	v_mul_f64 v[233:234], v[162:163], s[22:23]
	v_fma_f64 v[94:95], v[108:109], s[30:31], v[6:7]
	v_add_f64 v[20:21], v[98:99], v[20:21]
	v_mul_f64 v[18:19], v[227:228], s[22:23]
	v_fma_f64 v[98:99], v[225:226], s[30:31], -v[237:238]
	v_add_f64 v[92:93], v[239:240], v[92:93]
	v_fma_f64 v[16:17], v[128:129], s[18:19], -v[16:17]
	v_add_f64 v[10:11], v[10:11], v[12:13]
	v_mul_f64 v[241:242], v[201:202], s[52:53]
	v_fma_f64 v[239:240], v[104:105], s[14:15], v[233:234]
	v_add_f64 v[20:21], v[94:95], v[20:21]
	v_mul_f64 v[12:13], v[217:218], s[52:53]
	v_fma_f64 v[94:95], v[223:224], s[14:15], -v[18:19]
	v_add_f64 v[92:93], v[98:99], v[92:93]
	v_fma_f64 v[14:15], v[190:191], s[0:1], v[14:15]
	v_fma_f64 v[6:7], v[108:109], s[30:31], -v[6:7]
	v_add_f64 v[10:11], v[16:17], v[10:11]
	v_fma_f64 v[4:5], v[124:125], s[24:25], -v[4:5]
	v_fma_f64 v[98:99], v[140:141], s[24:25], v[241:242]
	v_add_f64 v[20:21], v[239:240], v[20:21]
	v_mul_f64 v[16:17], v[219:220], s[44:45]
	v_fma_f64 v[239:240], v[221:222], s[24:25], -v[12:13]
	v_add_f64 v[92:93], v[94:95], v[92:93]
	v_fma_f64 v[22:23], v[170:171], s[10:11], v[22:23]
	v_add_f64 v[14:15], v[132:133], v[14:15]
	v_fma_f64 v[233:234], v[104:105], s[14:15], -v[233:234]
	v_add_f64 v[6:7], v[6:7], v[10:11]
	v_mul_f64 v[243:244], v[174:175], s[44:45]
	v_add_f64 v[10:11], v[98:99], v[20:21]
	v_fma_f64 v[20:21], v[215:216], s[20:21], -v[16:17]
	v_add_f64 v[92:93], v[239:240], v[92:93]
	v_add_f64 v[98:99], v[4:5], v[0:1]
	v_fma_f64 v[0:1], v[168:169], s[28:29], v[96:97]
	v_add_f64 v[4:5], v[22:23], v[14:15]
	v_fma_f64 v[14:15], v[140:141], s[24:25], -v[241:242]
	v_add_f64 v[6:7], v[233:234], v[6:7]
	v_add_f64 v[96:97], v[8:9], v[2:3]
	v_mul_f64 v[8:9], v[231:232], s[48:49]
	v_fma_f64 v[94:95], v[124:125], s[20:21], v[243:244]
	v_add_f64 v[92:93], v[20:21], v[92:93]
	v_fma_f64 v[2:3], v[209:210], s[18:19], v[235:236]
	v_add_f64 v[0:1], v[0:1], v[4:5]
	v_mul_f64 v[20:21], v[229:230], s[26:27]
	v_add_f64 v[6:7], v[14:15], v[6:7]
	v_mul_f64 v[14:15], v[205:206], s[48:49]
	v_fma_f64 v[22:23], v[138:139], s[30:31], v[8:9]
	s_mov_b32 s47, 0x3fc7851a
	s_mov_b32 s46, s16
	v_add_f64 v[94:95], v[94:95], v[10:11]
	v_fma_f64 v[10:11], v[223:224], s[14:15], v[18:19]
	v_fma_f64 v[18:19], v[225:226], s[30:31], v[237:238]
	v_add_f64 v[0:1], v[2:3], v[0:1]
	v_mul_f64 v[2:3], v[203:204], s[26:27]
	v_fma_f64 v[233:234], v[190:191], s[30:31], -v[14:15]
	v_mul_f64 v[235:236], v[166:167], s[46:47]
	v_fma_f64 v[237:238], v[130:131], s[24:25], v[20:21]
	v_add_f64 v[22:23], v[134:135], v[22:23]
	v_fma_f64 v[4:5], v[124:125], s[20:21], -v[243:244]
	v_mul_f64 v[241:242], v[182:183], s[50:51]
	v_add_f64 v[0:1], v[18:19], v[0:1]
	v_mul_f64 v[18:19], v[207:208], s[46:47]
	v_fma_f64 v[239:240], v[170:171], s[24:25], -v[2:3]
	v_add_f64 v[233:234], v[132:133], v[233:234]
	v_fma_f64 v[243:244], v[136:137], s[10:11], v[235:236]
	v_add_f64 v[22:23], v[237:238], v[22:23]
	v_fma_f64 v[8:9], v[138:139], s[30:31], -v[8:9]
	v_fma_f64 v[245:246], v[128:129], s[28:29], v[241:242]
	v_add_f64 v[0:1], v[10:11], v[0:1]
	v_mul_f64 v[10:11], v[211:212], s[50:51]
	v_fma_f64 v[237:238], v[168:169], s[10:11], -v[18:19]
	v_add_f64 v[233:234], v[239:240], v[233:234]
	v_mul_f64 v[239:240], v[180:181], s[44:45]
	v_add_f64 v[22:23], v[243:244], v[22:23]
	v_fma_f64 v[20:21], v[130:131], s[24:25], -v[20:21]
	v_add_f64 v[8:9], v[134:135], v[8:9]
	v_mul_f64 v[243:244], v[213:214], s[44:45]
	v_fma_f64 v[247:248], v[209:210], s[28:29], -v[10:11]
	v_fma_f64 v[235:236], v[136:137], s[10:11], -v[235:236]
	v_add_f64 v[233:234], v[237:238], v[233:234]
	v_mul_f64 v[237:238], v[162:163], s[34:35]
	v_fma_f64 v[249:250], v[108:109], s[20:21], v[239:240]
	v_add_f64 v[22:23], v[245:246], v[22:23]
	v_add_f64 v[8:9], v[20:21], v[8:9]
	v_fma_f64 v[12:13], v[221:222], s[24:25], v[12:13]
	v_mul_f64 v[245:246], v[227:228], s[34:35]
	v_fma_f64 v[251:252], v[225:226], s[20:21], -v[243:244]
	v_add_f64 v[20:21], v[247:248], v[233:234]
	v_mul_f64 v[247:248], v[201:202], s[38:39]
	v_fma_f64 v[233:234], v[104:105], s[18:19], v[237:238]
	v_add_f64 v[22:23], v[249:250], v[22:23]
	v_fma_f64 v[241:242], v[128:129], s[28:29], -v[241:242]
	v_add_f64 v[8:9], v[235:236], v[8:9]
	v_mul_f64 v[249:250], v[217:218], s[38:39]
	v_fma_f64 v[253:254], v[223:224], s[18:19], -v[245:246]
	v_add_f64 v[20:21], v[251:252], v[20:21]
	v_mul_f64 v[251:252], v[174:175], s[22:23]
	v_fma_f64 v[235:236], v[140:141], s[0:1], v[247:248]
	v_add_f64 v[22:23], v[233:234], v[22:23]
	v_fma_f64 v[233:234], v[108:109], s[20:21], -v[239:240]
	v_add_f64 v[8:9], v[241:242], v[8:9]
	v_fma_f64 v[16:17], v[215:216], s[20:21], v[16:17]
	v_add_f64 v[0:1], v[12:13], v[0:1]
	v_mov_b32_e32 v72, v24
	v_mul_f64 v[24:25], v[219:220], s[22:23]
	v_fma_f64 v[26:27], v[221:222], s[0:1], -v[249:250]
	v_add_f64 v[20:21], v[253:254], v[20:21]
	v_fma_f64 v[12:13], v[124:125], s[14:15], v[251:252]
	v_add_f64 v[22:23], v[235:236], v[22:23]
	v_fma_f64 v[237:238], v[104:105], s[18:19], -v[237:238]
	v_add_f64 v[8:9], v[233:234], v[8:9]
	v_add_f64 v[233:234], v[16:17], v[0:1]
	v_fma_f64 v[0:1], v[190:191], s[30:31], v[14:15]
	v_fma_f64 v[241:242], v[215:216], s[14:15], -v[24:25]
	v_add_f64 v[20:21], v[26:27], v[20:21]
	v_add_f64 v[235:236], v[4:5], v[6:7]
	;; [unrolled: 1-line block ×3, first 2 shown]
	v_fma_f64 v[4:5], v[140:141], s[0:1], -v[247:248]
	v_mul_f64 v[6:7], v[231:232], s[42:43]
	v_add_f64 v[8:9], v[237:238], v[8:9]
	v_fma_f64 v[2:3], v[170:171], s[24:25], v[2:3]
	v_mul_f64 v[12:13], v[205:206], s[42:43]
	v_add_f64 v[0:1], v[132:133], v[0:1]
	v_add_f64 v[237:238], v[241:242], v[20:21]
	v_mul_f64 v[16:17], v[229:230], s[38:39]
	v_fma_f64 v[10:11], v[209:210], s[28:29], v[10:11]
	v_fma_f64 v[20:21], v[138:139], s[20:21], v[6:7]
	v_add_f64 v[4:5], v[4:5], v[8:9]
	v_fma_f64 v[8:9], v[168:169], s[10:11], v[18:19]
	v_mul_f64 v[18:19], v[203:204], s[38:39]
	v_fma_f64 v[22:23], v[190:191], s[20:21], -v[12:13]
	v_add_f64 v[0:1], v[2:3], v[0:1]
	v_mul_f64 v[2:3], v[166:167], s[26:27]
	v_fma_f64 v[26:27], v[130:131], s[0:1], v[16:17]
	v_add_f64 v[20:21], v[134:135], v[20:21]
	v_mul_f64 v[247:248], v[207:208], s[26:27]
	v_fma_f64 v[14:15], v[124:125], s[14:15], -v[251:252]
	v_fma_f64 v[241:242], v[170:171], s[0:1], -v[18:19]
	v_add_f64 v[22:23], v[132:133], v[22:23]
	v_add_f64 v[0:1], v[8:9], v[0:1]
	v_mul_f64 v[8:9], v[182:183], s[16:17]
	v_fma_f64 v[251:252], v[136:137], s[24:25], v[2:3]
	v_add_f64 v[20:21], v[26:27], v[20:21]
	v_fma_f64 v[26:27], v[225:226], s[20:21], v[243:244]
	v_mul_f64 v[253:254], v[211:212], s[16:17]
	v_fma_f64 v[243:244], v[168:169], s[24:25], -v[247:248]
	v_add_f64 v[22:23], v[241:242], v[22:23]
	v_add_f64 v[0:1], v[10:11], v[0:1]
	v_fma_f64 v[241:242], v[128:129], s[10:11], v[8:9]
	v_fma_f64 v[245:246], v[223:224], s[18:19], v[245:246]
	v_add_f64 v[20:21], v[251:252], v[20:21]
	v_mul_f64 v[251:252], v[213:214], s[54:55]
	v_mov_b32_e32 v73, v29
	v_fma_f64 v[28:29], v[209:210], s[10:11], -v[253:254]
	v_add_f64 v[22:23], v[243:244], v[22:23]
	v_add_f64 v[0:1], v[26:27], v[0:1]
	v_mul_f64 v[10:11], v[180:181], s[54:55]
	v_fma_f64 v[6:7], v[138:139], s[20:21], -v[6:7]
	v_add_f64 v[20:21], v[241:242], v[20:21]
	v_fma_f64 v[241:242], v[221:222], s[0:1], v[249:250]
	v_fma_f64 v[243:244], v[225:226], s[14:15], -v[251:252]
	v_mul_f64 v[26:27], v[162:163], s[50:51]
	v_add_f64 v[22:23], v[28:29], v[22:23]
	v_add_f64 v[0:1], v[245:246], v[0:1]
	v_fma_f64 v[30:31], v[108:109], s[14:15], v[10:11]
	v_mul_f64 v[249:250], v[227:228], s[50:51]
	v_mul_f64 v[28:29], v[201:202], s[40:41]
	v_fma_f64 v[24:25], v[215:216], s[14:15], v[24:25]
	v_add_f64 v[6:7], v[134:135], v[6:7]
	v_mov_b32_e32 v67, v35
	v_add_f64 v[22:23], v[243:244], v[22:23]
	v_add_f64 v[0:1], v[241:242], v[0:1]
	;; [unrolled: 1-line block ×3, first 2 shown]
	v_fma_f64 v[14:15], v[130:131], s[0:1], -v[16:17]
	v_mov_b32_e32 v71, v39
	v_fma_f64 v[245:246], v[104:105], s[28:29], v[26:27]
	v_add_f64 v[20:21], v[30:31], v[20:21]
	v_mul_f64 v[30:31], v[217:218], s[40:41]
	v_mov_b32_e32 v66, v34
	v_mov_b32_e32 v65, v33
	;; [unrolled: 1-line block ×3, first 2 shown]
	v_fma_f64 v[32:33], v[223:224], s[28:29], -v[249:250]
	v_mov_b32_e32 v70, v38
	v_mov_b32_e32 v69, v37
	;; [unrolled: 1-line block ×3, first 2 shown]
	v_fma_f64 v[36:37], v[140:141], s[30:31], v[28:29]
	v_add_f64 v[241:242], v[24:25], v[0:1]
	v_fma_f64 v[12:13], v[190:191], s[20:21], v[12:13]
	v_fma_f64 v[24:25], v[140:141], s[30:31], -v[28:29]
	v_fma_f64 v[2:3], v[136:137], s[24:25], -v[2:3]
	v_mul_f64 v[28:29], v[231:232], s[34:35]
	v_add_f64 v[6:7], v[14:15], v[6:7]
	v_mul_f64 v[34:35], v[174:175], s[36:37]
	v_add_f64 v[20:21], v[245:246], v[20:21]
	v_fma_f64 v[245:246], v[221:222], s[30:31], -v[30:31]
	v_add_f64 v[22:23], v[32:33], v[22:23]
	v_fma_f64 v[14:15], v[104:105], s[28:29], -v[26:27]
	v_fma_f64 v[18:19], v[170:171], s[0:1], v[18:19]
	v_add_f64 v[12:13], v[132:133], v[12:13]
	v_fma_f64 v[8:9], v[128:129], s[10:11], -v[8:9]
	v_mul_f64 v[26:27], v[229:230], s[42:43]
	v_fma_f64 v[32:33], v[138:139], s[18:19], v[28:29]
	v_add_f64 v[2:3], v[2:3], v[6:7]
	v_add_f64 v[6:7], v[134:135], v[188:189]
	v_fma_f64 v[0:1], v[124:125], s[18:19], v[34:35]
	v_add_f64 v[4:5], v[36:37], v[20:21]
	v_add_f64 v[20:21], v[245:246], v[22:23]
	v_fma_f64 v[22:23], v[124:125], s[18:19], -v[34:35]
	v_fma_f64 v[10:11], v[108:109], s[14:15], -v[10:11]
	v_add_f64 v[34:35], v[132:133], v[144:145]
	v_fma_f64 v[36:37], v[168:169], s[24:25], v[247:248]
	v_add_f64 v[12:13], v[18:19], v[12:13]
	v_mul_f64 v[18:19], v[166:167], s[48:49]
	v_fma_f64 v[144:145], v[130:131], s[20:21], v[26:27]
	v_add_f64 v[32:33], v[134:135], v[32:33]
	v_add_f64 v[2:3], v[8:9], v[2:3]
	;; [unrolled: 1-line block ×4, first 2 shown]
	v_fma_f64 v[34:35], v[209:210], s[10:11], v[253:254]
	v_add_f64 v[12:13], v[36:37], v[12:13]
	v_mul_f64 v[36:37], v[182:183], s[38:39]
	v_fma_f64 v[142:143], v[136:137], s[30:31], v[18:19]
	v_add_f64 v[32:33], v[144:145], v[32:33]
	v_add_f64 v[2:3], v[10:11], v[2:3]
	;; [unrolled: 1-line block ×4, first 2 shown]
	v_fma_f64 v[28:29], v[138:139], s[18:19], -v[28:29]
	v_add_f64 v[12:13], v[34:35], v[12:13]
	v_mul_f64 v[34:35], v[180:181], s[8:9]
	v_fma_f64 v[144:145], v[128:129], s[0:1], v[36:37]
	v_add_f64 v[32:33], v[142:143], v[32:33]
	v_add_f64 v[2:3], v[14:15], v[2:3]
	;; [unrolled: 1-line block ×4, first 2 shown]
	v_fma_f64 v[26:27], v[130:131], s[20:21], -v[26:27]
	v_add_f64 v[28:29], v[134:135], v[28:29]
	v_fma_f64 v[142:143], v[108:109], s[28:29], v[34:35]
	v_fma_f64 v[10:11], v[225:226], s[14:15], v[251:252]
	v_add_f64 v[32:33], v[144:145], v[32:33]
	v_add_f64 v[2:3], v[24:25], v[2:3]
	;; [unrolled: 1-line block ×4, first 2 shown]
	v_mul_f64 v[144:145], v[205:206], s[34:35]
	v_add_f64 v[26:27], v[26:27], v[28:29]
	v_mul_f64 v[138:139], v[203:204], s[42:43]
	v_add_f64 v[10:11], v[10:11], v[12:13]
	v_add_f64 v[32:33], v[142:143], v[32:33]
	;; [unrolled: 1-line block ×4, first 2 shown]
	buffer_load_dword v6, off, s[64:67], 0 offset:168 ; 4-byte Folded Reload
	buffer_load_dword v7, off, s[64:67], 0 offset:172 ; 4-byte Folded Reload
	;; [unrolled: 1-line block ×4, first 2 shown]
	v_mul_f64 v[12:13], v[162:163], s[26:27]
	v_fma_f64 v[162:163], v[190:191], s[18:19], v[144:145]
	v_mul_f64 v[164:165], v[207:208], s[48:49]
	v_fma_f64 v[144:145], v[190:191], s[18:19], -v[144:145]
	v_fma_f64 v[130:131], v[170:171], s[20:21], v[138:139]
	v_add_f64 v[2:3], v[160:161], v[2:3]
	v_mul_f64 v[160:161], v[211:212], s[38:39]
	v_fma_f64 v[138:139], v[170:171], s[20:21], -v[138:139]
	v_fma_f64 v[18:19], v[136:137], s[30:31], -v[18:19]
	v_add_f64 v[134:135], v[132:133], v[162:163]
	v_mul_f64 v[154:155], v[213:214], s[8:9]
	v_add_f64 v[132:133], v[132:133], v[144:145]
	v_fma_f64 v[36:37], v[128:129], s[0:1], -v[36:37]
	v_mul_f64 v[38:39], v[219:220], s[36:37]
	v_fma_f64 v[14:15], v[223:224], s[28:29], v[249:250]
	v_mul_f64 v[146:147], v[227:228], s[26:27]
	v_add_f64 v[18:19], v[18:19], v[26:27]
	v_fma_f64 v[26:27], v[209:210], s[0:1], v[160:161]
	v_fma_f64 v[34:35], v[108:109], s[28:29], -v[34:35]
	v_fma_f64 v[24:25], v[221:222], s[30:31], v[30:31]
	v_fma_f64 v[30:31], v[104:105], s[24:25], v[12:13]
	v_fma_f64 v[16:17], v[215:216], s[18:19], -v[38:39]
	v_add_f64 v[10:11], v[14:15], v[10:11]
	v_mul_f64 v[14:15], v[201:202], s[22:23]
	v_add_f64 v[18:19], v[36:37], v[18:19]
	v_fma_f64 v[36:37], v[225:226], s[28:29], v[154:155]
	v_fma_f64 v[12:13], v[104:105], s[24:25], -v[12:13]
	v_mul_f64 v[22:23], v[174:175], s[16:17]
	v_add_f64 v[30:31], v[30:31], v[32:33]
	v_mul_f64 v[32:33], v[219:220], s[16:17]
	v_add_f64 v[10:11], v[24:25], v[10:11]
	v_fma_f64 v[24:25], v[140:141], s[14:15], v[14:15]
	v_add_f64 v[18:19], v[34:35], v[18:19]
	v_fma_f64 v[34:35], v[223:224], s[24:25], v[146:147]
	v_fma_f64 v[14:15], v[140:141], s[14:15], -v[14:15]
	v_add_f64 v[24:25], v[24:25], v[30:31]
	v_add_f64 v[12:13], v[12:13], v[18:19]
	v_add_f64 v[12:13], v[14:15], v[12:13]
	v_fma_f64 v[14:15], v[215:216], s[10:11], v[32:33]
	s_waitcnt vmcnt(2)
	v_add_f64 v[6:7], v[6:7], v[8:9]
	s_waitcnt vmcnt(0)
	v_add_f64 v[2:3], v[74:75], v[2:3]
	buffer_load_dword v74, off, s[64:67], 0 offset:160 ; 4-byte Folded Reload
	buffer_load_dword v75, off, s[64:67], 0 offset:164 ; 4-byte Folded Reload
	v_fma_f64 v[8:9], v[215:216], s[18:19], v[38:39]
	v_mul_f64 v[38:39], v[217:218], s[22:23]
	v_add_f64 v[6:7], v[126:127], v[6:7]
	v_fma_f64 v[126:127], v[168:169], s[30:31], -v[164:165]
	v_add_f64 v[140:141], v[8:9], v[10:11]
	v_fma_f64 v[18:19], v[221:222], s[14:15], v[38:39]
	s_waitcnt vmcnt(0)
	v_add_f64 v[6:7], v[74:75], v[6:7]
	buffer_load_dword v74, off, s[64:67], 0 offset:128 ; 4-byte Folded Reload
	buffer_load_dword v75, off, s[64:67], 0 offset:132 ; 4-byte Folded Reload
	s_waitcnt vmcnt(0)
	v_add_f64 v[2:3], v[74:75], v[2:3]
	buffer_load_dword v74, off, s[64:67], 0 offset:152 ; 4-byte Folded Reload
	buffer_load_dword v75, off, s[64:67], 0 offset:156 ; 4-byte Folded Reload
	;; [unrolled: 1-line block ×4, first 2 shown]
	v_add_f64 v[2:3], v[116:117], v[2:3]
	v_add_f64 v[116:117], v[130:131], v[134:135]
	v_add_f64 v[130:131], v[138:139], v[132:133]
	v_add_f64 v[2:3], v[112:113], v[2:3]
	v_fma_f64 v[112:113], v[209:210], s[0:1], -v[160:161]
	v_add_f64 v[2:3], v[122:123], v[2:3]
	v_add_f64 v[2:3], v[114:115], v[2:3]
	;; [unrolled: 1-line block ×5, first 2 shown]
	s_waitcnt vmcnt(2)
	v_add_f64 v[6:7], v[74:75], v[6:7]
	s_waitcnt vmcnt(0)
	v_add_f64 v[6:7], v[28:29], v[6:7]
	v_fma_f64 v[28:29], v[168:169], s[30:31], v[164:165]
	v_add_f64 v[6:7], v[199:200], v[6:7]
	v_add_f64 v[28:29], v[28:29], v[116:117]
	;; [unrolled: 1-line block ×5, first 2 shown]
	v_fma_f64 v[28:29], v[225:226], s[28:29], -v[154:155]
	v_add_f64 v[108:109], v[112:113], v[116:117]
	v_add_f64 v[6:7], v[184:185], v[6:7]
	v_add_f64 v[26:27], v[36:37], v[26:27]
	v_fma_f64 v[36:37], v[223:224], s[24:25], -v[146:147]
	v_add_f64 v[28:29], v[28:29], v[108:109]
	v_add_f64 v[108:109], v[16:17], v[20:21]
	;; [unrolled: 1-line block ×4, first 2 shown]
	v_fma_f64 v[34:35], v[221:222], s[14:15], -v[38:39]
	v_add_f64 v[28:29], v[36:37], v[28:29]
	v_fma_f64 v[36:37], v[124:125], s[10:11], -v[22:23]
	v_fma_f64 v[22:23], v[124:125], s[10:11], v[22:23]
	v_add_f64 v[6:7], v[110:111], v[6:7]
	v_add_f64 v[18:19], v[18:19], v[26:27]
	v_fma_f64 v[26:27], v[215:216], s[10:11], -v[32:33]
	v_add_f64 v[28:29], v[34:35], v[28:29]
	v_add_f64 v[106:107], v[36:37], v[12:13]
	v_mov_b32_e32 v32, v64
	v_mov_b32_e32 v36, v68
	v_add_f64 v[114:115], v[22:23], v[24:25]
	v_add_f64 v[100:101], v[152:153], v[6:7]
	;; [unrolled: 1-line block ×3, first 2 shown]
	v_mov_b32_e32 v24, v72
	v_mov_b32_e32 v33, v65
	;; [unrolled: 1-line block ×7, first 2 shown]
	v_add_f64 v[110:111], v[0:1], v[4:5]
	v_lshl_add_u32 v0, v24, 4, v73
	v_add_f64 v[112:113], v[26:27], v[28:29]
	ds_write_b128 v255, v[100:103]
	ds_write_b128 v0, v[104:107] offset:256
	ds_write_b128 v0, v[140:143] offset:512
	;; [unrolled: 1-line block ×16, first 2 shown]
.LBB0_9:
	s_or_b64 exec, exec, s[2:3]
	s_waitcnt lgkmcnt(0)
	s_barrier
	ds_read_b128 v[64:67], v255
	ds_read_b128 v[68:71], v255 offset:272
	v_mad_u64_u32 v[0:1], s[0:1], s6, v196, 0
	s_mul_i32 s2, s5, 0x110
	s_waitcnt lgkmcnt(1)
	v_mul_f64 v[2:3], v[62:63], v[66:67]
	v_mul_f64 v[4:5], v[62:63], v[64:65]
	s_mul_hi_u32 s3, s4, 0x110
	s_add_i32 s2, s3, s2
	s_mul_i32 s3, s4, 0x110
	v_mov_b32_e32 v10, s2
	v_mov_b32_e32 v15, s2
	v_mad_u64_u32 v[6:7], s[0:1], s7, v196, v[1:2]
	v_mad_u64_u32 v[7:8], s[0:1], s4, v24, 0
	v_fma_f64 v[2:3], v[60:61], v[64:65], v[2:3]
	v_fma_f64 v[4:5], v[60:61], v[66:67], -v[4:5]
	v_mov_b32_e32 v1, v6
	v_mov_b32_e32 v6, v8
	v_mad_u64_u32 v[8:9], s[0:1], s5, v24, v[6:7]
	s_mov_b32 s0, 0x1e1e1e1e
	s_mov_b32 s1, 0x3f6e1e1e
	v_mul_f64 v[60:61], v[2:3], s[0:1]
	v_mul_f64 v[62:63], v[4:5], s[0:1]
	v_lshlrev_b64 v[0:1], 4, v[0:1]
	s_waitcnt lgkmcnt(0)
	v_mul_f64 v[2:3], v[46:47], v[70:71]
	v_mul_f64 v[4:5], v[46:47], v[68:69]
	v_mov_b32_e32 v6, s13
	v_add_co_u32_e32 v9, vcc, s12, v0
	v_addc_co_u32_e32 v6, vcc, v6, v1, vcc
	v_lshlrev_b64 v[0:1], 4, v[7:8]
	v_fma_f64 v[2:3], v[44:45], v[68:69], v[2:3]
	v_add_co_u32_e32 v0, vcc, v9, v0
	v_addc_co_u32_e32 v1, vcc, v6, v1, vcc
	global_store_dwordx4 v[0:1], v[60:63], off
	v_fma_f64 v[4:5], v[44:45], v[70:71], -v[4:5]
	ds_read_b128 v[44:47], v255 offset:544
	ds_read_b128 v[64:67], v255 offset:816
	buffer_load_dword v11, off, s[64:67], 0 offset:80 ; 4-byte Folded Reload
	buffer_load_dword v12, off, s[64:67], 0 offset:84 ; 4-byte Folded Reload
	;; [unrolled: 1-line block ×4, first 2 shown]
	v_mul_f64 v[60:61], v[2:3], s[0:1]
	v_add_co_u32_e32 v0, vcc, s3, v0
	s_waitcnt lgkmcnt(1)
	v_mul_f64 v[2:3], v[54:55], v[46:47]
	v_mul_f64 v[6:7], v[54:55], v[44:45]
	;; [unrolled: 1-line block ×3, first 2 shown]
	v_addc_co_u32_e32 v1, vcc, v1, v10, vcc
	ds_read_b128 v[28:31], v255 offset:1360
	v_fma_f64 v[2:3], v[52:53], v[44:45], v[2:3]
	v_fma_f64 v[4:5], v[52:53], v[46:47], -v[6:7]
	global_store_dwordx4 v[0:1], v[60:63], off
	v_add_co_u32_e32 v0, vcc, s3, v0
	v_addc_co_u32_e32 v1, vcc, v1, v10, vcc
	ds_read_b128 v[52:55], v255 offset:1088
	v_mul_f64 v[44:45], v[2:3], s[0:1]
	v_mul_f64 v[46:47], v[4:5], s[0:1]
	global_store_dwordx4 v[0:1], v[44:47], off
	v_add_co_u32_e32 v0, vcc, s3, v0
	v_addc_co_u32_e32 v1, vcc, v1, v10, vcc
	s_waitcnt vmcnt(2) lgkmcnt(2)
	v_mul_f64 v[6:7], v[13:14], v[66:67]
	v_mul_f64 v[8:9], v[13:14], v[64:65]
	v_fma_f64 v[2:3], v[11:12], v[64:65], v[6:7]
	v_fma_f64 v[4:5], v[11:12], v[66:67], -v[8:9]
	buffer_load_dword v11, off, s[64:67], 0 offset:64 ; 4-byte Folded Reload
	buffer_load_dword v12, off, s[64:67], 0 offset:68 ; 4-byte Folded Reload
	;; [unrolled: 1-line block ×4, first 2 shown]
	s_waitcnt lgkmcnt(0)
	v_mul_f64 v[6:7], v[58:59], v[54:55]
	v_mul_f64 v[8:9], v[58:59], v[52:53]
	ds_read_b128 v[24:27], v255 offset:1904
	v_mul_f64 v[44:45], v[2:3], s[0:1]
	v_mul_f64 v[46:47], v[4:5], s[0:1]
	v_fma_f64 v[2:3], v[56:57], v[52:53], v[6:7]
	v_fma_f64 v[4:5], v[56:57], v[54:55], -v[8:9]
	ds_read_b128 v[52:55], v255 offset:1632
	global_store_dwordx4 v[0:1], v[44:47], off
	v_add_co_u32_e32 v0, vcc, s3, v0
	v_mul_f64 v[44:45], v[2:3], s[0:1]
	v_mul_f64 v[46:47], v[4:5], s[0:1]
	v_addc_co_u32_e32 v1, vcc, v1, v10, vcc
	global_store_dwordx4 v[0:1], v[44:47], off
	v_add_co_u32_e32 v0, vcc, s3, v0
	v_addc_co_u32_e32 v1, vcc, v1, v10, vcc
	s_waitcnt vmcnt(2)
	v_mul_f64 v[6:7], v[13:14], v[30:31]
	v_mul_f64 v[8:9], v[13:14], v[28:29]
	v_fma_f64 v[2:3], v[11:12], v[28:29], v[6:7]
	v_fma_f64 v[4:5], v[11:12], v[30:31], -v[8:9]
	buffer_load_dword v11, off, s[64:67], 0 offset:48 ; 4-byte Folded Reload
	buffer_load_dword v12, off, s[64:67], 0 offset:52 ; 4-byte Folded Reload
	;; [unrolled: 1-line block ×4, first 2 shown]
	s_waitcnt lgkmcnt(0)
	v_mul_f64 v[6:7], v[50:51], v[54:55]
	v_mul_f64 v[8:9], v[50:51], v[52:53]
	ds_read_b128 v[44:47], v255 offset:2176
	ds_read_b128 v[20:23], v255 offset:2448
	v_mul_f64 v[28:29], v[2:3], s[0:1]
	v_mul_f64 v[30:31], v[4:5], s[0:1]
	v_fma_f64 v[2:3], v[48:49], v[52:53], v[6:7]
	v_fma_f64 v[4:5], v[48:49], v[54:55], -v[8:9]
	global_store_dwordx4 v[0:1], v[28:31], off
	v_add_co_u32_e32 v0, vcc, s3, v0
	v_mul_f64 v[28:29], v[2:3], s[0:1]
	v_mul_f64 v[30:31], v[4:5], s[0:1]
	v_addc_co_u32_e32 v1, vcc, v1, v10, vcc
	global_store_dwordx4 v[0:1], v[28:31], off
	v_add_co_u32_e32 v0, vcc, s3, v0
	v_addc_co_u32_e32 v1, vcc, v1, v10, vcc
	ds_read_b128 v[28:31], v255 offset:2720
	s_waitcnt vmcnt(2)
	v_mul_f64 v[6:7], v[13:14], v[26:27]
	v_mul_f64 v[8:9], v[13:14], v[24:25]
	v_mov_b32_e32 v14, s2
	v_fma_f64 v[2:3], v[11:12], v[24:25], v[6:7]
	v_fma_f64 v[4:5], v[11:12], v[26:27], -v[8:9]
	s_waitcnt lgkmcnt(2)
	v_mul_f64 v[6:7], v[42:43], v[46:47]
	v_mul_f64 v[8:9], v[42:43], v[44:45]
	v_mul_f64 v[24:25], v[2:3], s[0:1]
	v_mul_f64 v[26:27], v[4:5], s[0:1]
	v_fma_f64 v[2:3], v[40:41], v[44:45], v[6:7]
	v_fma_f64 v[4:5], v[40:41], v[46:47], -v[8:9]
	s_waitcnt lgkmcnt(1)
	v_mul_f64 v[6:7], v[38:39], v[22:23]
	v_mul_f64 v[8:9], v[38:39], v[20:21]
	global_store_dwordx4 v[0:1], v[24:27], off
	s_nop 0
	v_mul_f64 v[24:25], v[2:3], s[0:1]
	v_mul_f64 v[26:27], v[4:5], s[0:1]
	v_fma_f64 v[2:3], v[36:37], v[20:21], v[6:7]
	ds_read_b128 v[4:7], v255 offset:2992
	buffer_load_dword v16, off, s[64:67], 0 offset:112 ; 4-byte Folded Reload
	buffer_load_dword v17, off, s[64:67], 0 offset:116 ; 4-byte Folded Reload
	;; [unrolled: 1-line block ×4, first 2 shown]
	v_fma_f64 v[8:9], v[36:37], v[22:23], -v[8:9]
	v_add_co_u32_e32 v0, vcc, s3, v0
	v_addc_co_u32_e32 v1, vcc, v1, v14, vcc
	v_mul_f64 v[20:21], v[2:3], s[0:1]
	v_add_co_u32_e32 v14, vcc, s3, v0
	v_mul_f64 v[22:23], v[8:9], s[0:1]
	v_addc_co_u32_e32 v15, vcc, v1, v15, vcc
	global_store_dwordx4 v[0:1], v[24:27], off
	ds_read_b128 v[24:27], v255 offset:3264
	global_store_dwordx4 v[14:15], v[20:23], off
	s_waitcnt vmcnt(2) lgkmcnt(2)
	v_mul_f64 v[10:11], v[18:19], v[30:31]
	v_mul_f64 v[12:13], v[18:19], v[28:29]
	v_mov_b32_e32 v18, s2
	v_fma_f64 v[2:3], v[16:17], v[28:29], v[10:11]
	v_fma_f64 v[8:9], v[16:17], v[30:31], -v[12:13]
	s_waitcnt lgkmcnt(1)
	v_mul_f64 v[12:13], v[34:35], v[4:5]
	v_mul_f64 v[10:11], v[34:35], v[6:7]
	v_mov_b32_e32 v16, s2
	v_mul_f64 v[20:21], v[2:3], s[0:1]
	ds_read_b128 v[0:3], v255 offset:3536
	v_mul_f64 v[22:23], v[8:9], s[0:1]
	buffer_load_dword v28, off, s[64:67], 0 offset:96 ; 4-byte Folded Reload
	buffer_load_dword v29, off, s[64:67], 0 offset:100 ; 4-byte Folded Reload
	;; [unrolled: 1-line block ×4, first 2 shown]
	v_fma_f64 v[6:7], v[32:33], v[6:7], -v[12:13]
	v_add_co_u32_e32 v12, vcc, s3, v14
	v_addc_co_u32_e32 v13, vcc, v15, v16, vcc
	v_fma_f64 v[4:5], v[32:33], v[4:5], v[10:11]
	global_store_dwordx4 v[12:13], v[20:23], off
	buffer_load_dword v19, off, s[64:67], 0 ; 4-byte Folded Reload
	s_nop 0
	buffer_load_dword v20, off, s[64:67], 0 offset:4 ; 4-byte Folded Reload
	buffer_load_dword v21, off, s[64:67], 0 offset:8 ; 4-byte Folded Reload
	;; [unrolled: 1-line block ×3, first 2 shown]
	v_mul_f64 v[6:7], v[6:7], s[0:1]
	v_add_co_u32_e32 v12, vcc, s3, v12
	v_addc_co_u32_e32 v13, vcc, v13, v18, vcc
	v_mul_f64 v[4:5], v[4:5], s[0:1]
	global_store_dwordx4 v[12:13], v[4:7], off
	v_add_co_u32_e32 v12, vcc, s3, v12
	v_addc_co_u32_e32 v13, vcc, v13, v18, vcc
	s_waitcnt vmcnt(6) lgkmcnt(1)
	v_mul_f64 v[8:9], v[30:31], v[26:27]
	v_mul_f64 v[10:11], v[30:31], v[24:25]
	v_fma_f64 v[8:9], v[28:29], v[24:25], v[8:9]
	v_fma_f64 v[10:11], v[28:29], v[26:27], -v[10:11]
	s_waitcnt vmcnt(1) lgkmcnt(0)
	v_mul_f64 v[14:15], v[21:22], v[2:3]
	v_mul_f64 v[16:17], v[21:22], v[0:1]
	;; [unrolled: 1-line block ×4, first 2 shown]
	v_fma_f64 v[14:15], v[19:20], v[0:1], v[14:15]
	v_fma_f64 v[16:17], v[19:20], v[2:3], -v[16:17]
	ds_read_b128 v[0:3], v255 offset:3808
	ds_read_b128 v[8:11], v255 offset:4080
	buffer_load_dword v26, off, s[64:67], 0 offset:16 ; 4-byte Folded Reload
	buffer_load_dword v27, off, s[64:67], 0 offset:20 ; 4-byte Folded Reload
	;; [unrolled: 1-line block ×4, first 2 shown]
	s_waitcnt vmcnt(0) lgkmcnt(1)
	v_mul_f64 v[18:19], v[28:29], v[2:3]
	v_mul_f64 v[20:21], v[28:29], v[0:1]
	buffer_load_dword v28, off, s[64:67], 0 offset:32 ; 4-byte Folded Reload
	buffer_load_dword v29, off, s[64:67], 0 offset:36 ; 4-byte Folded Reload
	;; [unrolled: 1-line block ×4, first 2 shown]
	v_fma_f64 v[0:1], v[26:27], v[0:1], v[18:19]
	v_fma_f64 v[2:3], v[26:27], v[2:3], -v[20:21]
	global_store_dwordx4 v[12:13], v[4:7], off
	v_add_co_u32_e32 v12, vcc, s3, v12
	v_mul_f64 v[4:5], v[14:15], s[0:1]
	v_mul_f64 v[6:7], v[16:17], s[0:1]
	v_mov_b32_e32 v14, s2
	v_mul_f64 v[0:1], v[0:1], s[0:1]
	v_mul_f64 v[2:3], v[2:3], s[0:1]
	v_addc_co_u32_e32 v13, vcc, v13, v14, vcc
	global_store_dwordx4 v[12:13], v[4:7], off
	s_waitcnt vmcnt(2) lgkmcnt(0)
	v_mul_f64 v[22:23], v[30:31], v[10:11]
	v_mul_f64 v[24:25], v[30:31], v[8:9]
	v_fma_f64 v[8:9], v[28:29], v[8:9], v[22:23]
	v_fma_f64 v[10:11], v[28:29], v[10:11], -v[24:25]
	v_mul_f64 v[4:5], v[8:9], s[0:1]
	v_mul_f64 v[6:7], v[10:11], s[0:1]
	v_add_co_u32_e32 v8, vcc, s3, v12
	v_addc_co_u32_e32 v9, vcc, v13, v14, vcc
	global_store_dwordx4 v[8:9], v[0:3], off
	s_nop 0
	v_mov_b32_e32 v1, s2
	v_add_co_u32_e32 v0, vcc, s3, v8
	v_addc_co_u32_e32 v1, vcc, v9, v1, vcc
	global_store_dwordx4 v[0:1], v[4:7], off
.LBB0_10:
	s_endpgm
	.section	.rodata,"a",@progbits
	.p2align	6, 0x0
	.amdhsa_kernel bluestein_single_fwd_len272_dim1_dp_op_CI_CI
		.amdhsa_group_segment_fixed_size 30464
		.amdhsa_private_segment_fixed_size 516
		.amdhsa_kernarg_size 104
		.amdhsa_user_sgpr_count 6
		.amdhsa_user_sgpr_private_segment_buffer 1
		.amdhsa_user_sgpr_dispatch_ptr 0
		.amdhsa_user_sgpr_queue_ptr 0
		.amdhsa_user_sgpr_kernarg_segment_ptr 1
		.amdhsa_user_sgpr_dispatch_id 0
		.amdhsa_user_sgpr_flat_scratch_init 0
		.amdhsa_user_sgpr_private_segment_size 0
		.amdhsa_uses_dynamic_stack 0
		.amdhsa_system_sgpr_private_segment_wavefront_offset 1
		.amdhsa_system_sgpr_workgroup_id_x 1
		.amdhsa_system_sgpr_workgroup_id_y 0
		.amdhsa_system_sgpr_workgroup_id_z 0
		.amdhsa_system_sgpr_workgroup_info 0
		.amdhsa_system_vgpr_workitem_id 0
		.amdhsa_next_free_vgpr 256
		.amdhsa_next_free_sgpr 68
		.amdhsa_reserve_vcc 1
		.amdhsa_reserve_flat_scratch 0
		.amdhsa_float_round_mode_32 0
		.amdhsa_float_round_mode_16_64 0
		.amdhsa_float_denorm_mode_32 3
		.amdhsa_float_denorm_mode_16_64 3
		.amdhsa_dx10_clamp 1
		.amdhsa_ieee_mode 1
		.amdhsa_fp16_overflow 0
		.amdhsa_exception_fp_ieee_invalid_op 0
		.amdhsa_exception_fp_denorm_src 0
		.amdhsa_exception_fp_ieee_div_zero 0
		.amdhsa_exception_fp_ieee_overflow 0
		.amdhsa_exception_fp_ieee_underflow 0
		.amdhsa_exception_fp_ieee_inexact 0
		.amdhsa_exception_int_div_zero 0
	.end_amdhsa_kernel
	.text
.Lfunc_end0:
	.size	bluestein_single_fwd_len272_dim1_dp_op_CI_CI, .Lfunc_end0-bluestein_single_fwd_len272_dim1_dp_op_CI_CI
                                        ; -- End function
	.section	.AMDGPU.csdata,"",@progbits
; Kernel info:
; codeLenInByte = 23656
; NumSgprs: 72
; NumVgprs: 256
; ScratchSize: 516
; MemoryBound: 0
; FloatMode: 240
; IeeeMode: 1
; LDSByteSize: 30464 bytes/workgroup (compile time only)
; SGPRBlocks: 8
; VGPRBlocks: 63
; NumSGPRsForWavesPerEU: 72
; NumVGPRsForWavesPerEU: 256
; Occupancy: 1
; WaveLimiterHint : 1
; COMPUTE_PGM_RSRC2:SCRATCH_EN: 1
; COMPUTE_PGM_RSRC2:USER_SGPR: 6
; COMPUTE_PGM_RSRC2:TRAP_HANDLER: 0
; COMPUTE_PGM_RSRC2:TGID_X_EN: 1
; COMPUTE_PGM_RSRC2:TGID_Y_EN: 0
; COMPUTE_PGM_RSRC2:TGID_Z_EN: 0
; COMPUTE_PGM_RSRC2:TIDIG_COMP_CNT: 0
	.type	__hip_cuid_f3124ebc2dcf9d08,@object ; @__hip_cuid_f3124ebc2dcf9d08
	.section	.bss,"aw",@nobits
	.globl	__hip_cuid_f3124ebc2dcf9d08
__hip_cuid_f3124ebc2dcf9d08:
	.byte	0                               ; 0x0
	.size	__hip_cuid_f3124ebc2dcf9d08, 1

	.ident	"AMD clang version 19.0.0git (https://github.com/RadeonOpenCompute/llvm-project roc-6.4.0 25133 c7fe45cf4b819c5991fe208aaa96edf142730f1d)"
	.section	".note.GNU-stack","",@progbits
	.addrsig
	.addrsig_sym __hip_cuid_f3124ebc2dcf9d08
	.amdgpu_metadata
---
amdhsa.kernels:
  - .args:
      - .actual_access:  read_only
        .address_space:  global
        .offset:         0
        .size:           8
        .value_kind:     global_buffer
      - .actual_access:  read_only
        .address_space:  global
        .offset:         8
        .size:           8
        .value_kind:     global_buffer
      - .actual_access:  read_only
        .address_space:  global
        .offset:         16
        .size:           8
        .value_kind:     global_buffer
      - .actual_access:  read_only
        .address_space:  global
        .offset:         24
        .size:           8
        .value_kind:     global_buffer
      - .actual_access:  read_only
        .address_space:  global
        .offset:         32
        .size:           8
        .value_kind:     global_buffer
      - .offset:         40
        .size:           8
        .value_kind:     by_value
      - .address_space:  global
        .offset:         48
        .size:           8
        .value_kind:     global_buffer
      - .address_space:  global
        .offset:         56
        .size:           8
        .value_kind:     global_buffer
      - .address_space:  global
        .offset:         64
        .size:           8
        .value_kind:     global_buffer
      - .address_space:  global
        .offset:         72
        .size:           8
        .value_kind:     global_buffer
      - .offset:         80
        .size:           4
        .value_kind:     by_value
      - .address_space:  global
        .offset:         88
        .size:           8
        .value_kind:     global_buffer
      - .address_space:  global
        .offset:         96
        .size:           8
        .value_kind:     global_buffer
    .group_segment_fixed_size: 30464
    .kernarg_segment_align: 8
    .kernarg_segment_size: 104
    .language:       OpenCL C
    .language_version:
      - 2
      - 0
    .max_flat_workgroup_size: 119
    .name:           bluestein_single_fwd_len272_dim1_dp_op_CI_CI
    .private_segment_fixed_size: 516
    .sgpr_count:     72
    .sgpr_spill_count: 0
    .symbol:         bluestein_single_fwd_len272_dim1_dp_op_CI_CI.kd
    .uniform_work_group_size: 1
    .uses_dynamic_stack: false
    .vgpr_count:     256
    .vgpr_spill_count: 140
    .wavefront_size: 64
amdhsa.target:   amdgcn-amd-amdhsa--gfx906
amdhsa.version:
  - 1
  - 2
...

	.end_amdgpu_metadata
